;; amdgpu-corpus repo=ROCm/rocFFT kind=compiled arch=gfx1030 opt=O3
	.text
	.amdgcn_target "amdgcn-amd-amdhsa--gfx1030"
	.amdhsa_code_object_version 6
	.protected	fft_rtc_back_len1352_factors_2_13_13_4_wgs_52_tpt_52_halfLds_dp_op_CI_CI_sbrr_dirReg ; -- Begin function fft_rtc_back_len1352_factors_2_13_13_4_wgs_52_tpt_52_halfLds_dp_op_CI_CI_sbrr_dirReg
	.globl	fft_rtc_back_len1352_factors_2_13_13_4_wgs_52_tpt_52_halfLds_dp_op_CI_CI_sbrr_dirReg
	.p2align	8
	.type	fft_rtc_back_len1352_factors_2_13_13_4_wgs_52_tpt_52_halfLds_dp_op_CI_CI_sbrr_dirReg,@function
fft_rtc_back_len1352_factors_2_13_13_4_wgs_52_tpt_52_halfLds_dp_op_CI_CI_sbrr_dirReg: ; @fft_rtc_back_len1352_factors_2_13_13_4_wgs_52_tpt_52_halfLds_dp_op_CI_CI_sbrr_dirReg
; %bb.0:
	s_clause 0x2
	s_load_dwordx4 s[16:19], s[4:5], 0x18
	s_load_dwordx4 s[8:11], s[4:5], 0x0
	;; [unrolled: 1-line block ×3, first 2 shown]
	v_mul_u32_u24_e32 v1, 0x4ed, v0
	v_mov_b32_e32 v3, 0
	s_waitcnt lgkmcnt(0)
	s_load_dwordx2 s[20:21], s[16:17], 0x0
	s_load_dwordx2 s[2:3], s[18:19], 0x0
	v_cmp_lt_u64_e64 s0, s[10:11], 2
	v_add_nc_u32_sdwa v5, s6, v1 dst_sel:DWORD dst_unused:UNUSED_PAD src0_sel:DWORD src1_sel:WORD_1
	v_mov_b32_e32 v1, 0
	v_mov_b32_e32 v6, v3
	;; [unrolled: 1-line block ×3, first 2 shown]
	s_and_b32 vcc_lo, exec_lo, s0
	s_cbranch_vccnz .LBB0_8
; %bb.1:
	s_load_dwordx2 s[0:1], s[4:5], 0x10
	v_mov_b32_e32 v1, 0
	v_mov_b32_e32 v2, 0
	s_add_u32 s6, s18, 8
	s_addc_u32 s7, s19, 0
	s_add_u32 s22, s16, 8
	s_addc_u32 s23, s17, 0
	v_mov_b32_e32 v145, v2
	v_mov_b32_e32 v144, v1
	s_mov_b64 s[26:27], 1
	s_waitcnt lgkmcnt(0)
	s_add_u32 s24, s0, 8
	s_addc_u32 s25, s1, 0
.LBB0_2:                                ; =>This Inner Loop Header: Depth=1
	s_load_dwordx2 s[28:29], s[24:25], 0x0
                                        ; implicit-def: $vgpr146_vgpr147
	s_mov_b32 s0, exec_lo
	s_waitcnt lgkmcnt(0)
	v_or_b32_e32 v4, s29, v6
	v_cmpx_ne_u64_e32 0, v[3:4]
	s_xor_b32 s1, exec_lo, s0
	s_cbranch_execz .LBB0_4
; %bb.3:                                ;   in Loop: Header=BB0_2 Depth=1
	v_cvt_f32_u32_e32 v4, s28
	v_cvt_f32_u32_e32 v7, s29
	s_sub_u32 s0, 0, s28
	s_subb_u32 s30, 0, s29
	v_fmac_f32_e32 v4, 0x4f800000, v7
	v_rcp_f32_e32 v4, v4
	v_mul_f32_e32 v4, 0x5f7ffffc, v4
	v_mul_f32_e32 v7, 0x2f800000, v4
	v_trunc_f32_e32 v7, v7
	v_fmac_f32_e32 v4, 0xcf800000, v7
	v_cvt_u32_f32_e32 v7, v7
	v_cvt_u32_f32_e32 v4, v4
	v_mul_lo_u32 v8, s0, v7
	v_mul_hi_u32 v9, s0, v4
	v_mul_lo_u32 v10, s30, v4
	v_add_nc_u32_e32 v8, v9, v8
	v_mul_lo_u32 v9, s0, v4
	v_add_nc_u32_e32 v8, v8, v10
	v_mul_hi_u32 v10, v4, v9
	v_mul_lo_u32 v11, v4, v8
	v_mul_hi_u32 v12, v4, v8
	v_mul_hi_u32 v13, v7, v9
	v_mul_lo_u32 v9, v7, v9
	v_mul_hi_u32 v14, v7, v8
	v_mul_lo_u32 v8, v7, v8
	v_add_co_u32 v10, vcc_lo, v10, v11
	v_add_co_ci_u32_e32 v11, vcc_lo, 0, v12, vcc_lo
	v_add_co_u32 v9, vcc_lo, v10, v9
	v_add_co_ci_u32_e32 v9, vcc_lo, v11, v13, vcc_lo
	v_add_co_ci_u32_e32 v10, vcc_lo, 0, v14, vcc_lo
	v_add_co_u32 v8, vcc_lo, v9, v8
	v_add_co_ci_u32_e32 v9, vcc_lo, 0, v10, vcc_lo
	v_add_co_u32 v4, vcc_lo, v4, v8
	v_add_co_ci_u32_e32 v7, vcc_lo, v7, v9, vcc_lo
	v_mul_hi_u32 v8, s0, v4
	v_mul_lo_u32 v10, s30, v4
	v_mul_lo_u32 v9, s0, v7
	v_add_nc_u32_e32 v8, v8, v9
	v_mul_lo_u32 v9, s0, v4
	v_add_nc_u32_e32 v8, v8, v10
	v_mul_hi_u32 v10, v4, v9
	v_mul_lo_u32 v11, v4, v8
	v_mul_hi_u32 v12, v4, v8
	v_mul_hi_u32 v13, v7, v9
	v_mul_lo_u32 v9, v7, v9
	v_mul_hi_u32 v14, v7, v8
	v_mul_lo_u32 v8, v7, v8
	v_add_co_u32 v10, vcc_lo, v10, v11
	v_add_co_ci_u32_e32 v11, vcc_lo, 0, v12, vcc_lo
	v_add_co_u32 v9, vcc_lo, v10, v9
	v_add_co_ci_u32_e32 v9, vcc_lo, v11, v13, vcc_lo
	v_add_co_ci_u32_e32 v10, vcc_lo, 0, v14, vcc_lo
	v_add_co_u32 v8, vcc_lo, v9, v8
	v_add_co_ci_u32_e32 v9, vcc_lo, 0, v10, vcc_lo
	v_add_co_u32 v4, vcc_lo, v4, v8
	v_add_co_ci_u32_e32 v11, vcc_lo, v7, v9, vcc_lo
	v_mul_hi_u32 v13, v5, v4
	v_mad_u64_u32 v[9:10], null, v6, v4, 0
	v_mad_u64_u32 v[7:8], null, v5, v11, 0
	v_mad_u64_u32 v[11:12], null, v6, v11, 0
	v_add_co_u32 v4, vcc_lo, v13, v7
	v_add_co_ci_u32_e32 v7, vcc_lo, 0, v8, vcc_lo
	v_add_co_u32 v4, vcc_lo, v4, v9
	v_add_co_ci_u32_e32 v4, vcc_lo, v7, v10, vcc_lo
	v_add_co_ci_u32_e32 v7, vcc_lo, 0, v12, vcc_lo
	v_add_co_u32 v4, vcc_lo, v4, v11
	v_add_co_ci_u32_e32 v9, vcc_lo, 0, v7, vcc_lo
	v_mul_lo_u32 v10, s29, v4
	v_mad_u64_u32 v[7:8], null, s28, v4, 0
	v_mul_lo_u32 v11, s28, v9
	v_sub_co_u32 v7, vcc_lo, v5, v7
	v_add3_u32 v8, v8, v11, v10
	v_sub_nc_u32_e32 v10, v6, v8
	v_subrev_co_ci_u32_e64 v10, s0, s29, v10, vcc_lo
	v_add_co_u32 v11, s0, v4, 2
	v_add_co_ci_u32_e64 v12, s0, 0, v9, s0
	v_sub_co_u32 v13, s0, v7, s28
	v_sub_co_ci_u32_e32 v8, vcc_lo, v6, v8, vcc_lo
	v_subrev_co_ci_u32_e64 v10, s0, 0, v10, s0
	v_cmp_le_u32_e32 vcc_lo, s28, v13
	v_cmp_eq_u32_e64 s0, s29, v8
	v_cndmask_b32_e64 v13, 0, -1, vcc_lo
	v_cmp_le_u32_e32 vcc_lo, s29, v10
	v_cndmask_b32_e64 v14, 0, -1, vcc_lo
	v_cmp_le_u32_e32 vcc_lo, s28, v7
	;; [unrolled: 2-line block ×3, first 2 shown]
	v_cndmask_b32_e64 v15, 0, -1, vcc_lo
	v_cmp_eq_u32_e32 vcc_lo, s29, v10
	v_cndmask_b32_e64 v7, v15, v7, s0
	v_cndmask_b32_e32 v10, v14, v13, vcc_lo
	v_add_co_u32 v13, vcc_lo, v4, 1
	v_add_co_ci_u32_e32 v14, vcc_lo, 0, v9, vcc_lo
	v_cmp_ne_u32_e32 vcc_lo, 0, v10
	v_cndmask_b32_e32 v8, v14, v12, vcc_lo
	v_cndmask_b32_e32 v10, v13, v11, vcc_lo
	v_cmp_ne_u32_e32 vcc_lo, 0, v7
	v_cndmask_b32_e32 v147, v9, v8, vcc_lo
	v_cndmask_b32_e32 v146, v4, v10, vcc_lo
.LBB0_4:                                ;   in Loop: Header=BB0_2 Depth=1
	s_andn2_saveexec_b32 s0, s1
	s_cbranch_execz .LBB0_6
; %bb.5:                                ;   in Loop: Header=BB0_2 Depth=1
	v_cvt_f32_u32_e32 v4, s28
	s_sub_i32 s1, 0, s28
	v_mov_b32_e32 v147, v3
	v_rcp_iflag_f32_e32 v4, v4
	v_mul_f32_e32 v4, 0x4f7ffffe, v4
	v_cvt_u32_f32_e32 v4, v4
	v_mul_lo_u32 v7, s1, v4
	v_mul_hi_u32 v7, v4, v7
	v_add_nc_u32_e32 v4, v4, v7
	v_mul_hi_u32 v4, v5, v4
	v_mul_lo_u32 v7, v4, s28
	v_add_nc_u32_e32 v8, 1, v4
	v_sub_nc_u32_e32 v7, v5, v7
	v_subrev_nc_u32_e32 v9, s28, v7
	v_cmp_le_u32_e32 vcc_lo, s28, v7
	v_cndmask_b32_e32 v7, v7, v9, vcc_lo
	v_cndmask_b32_e32 v4, v4, v8, vcc_lo
	v_cmp_le_u32_e32 vcc_lo, s28, v7
	v_add_nc_u32_e32 v8, 1, v4
	v_cndmask_b32_e32 v146, v4, v8, vcc_lo
.LBB0_6:                                ;   in Loop: Header=BB0_2 Depth=1
	s_or_b32 exec_lo, exec_lo, s0
	v_mul_lo_u32 v4, v147, s28
	v_mul_lo_u32 v9, v146, s29
	s_load_dwordx2 s[0:1], s[22:23], 0x0
	v_mad_u64_u32 v[7:8], null, v146, s28, 0
	s_load_dwordx2 s[28:29], s[6:7], 0x0
	s_add_u32 s26, s26, 1
	s_addc_u32 s27, s27, 0
	s_add_u32 s6, s6, 8
	s_addc_u32 s7, s7, 0
	s_add_u32 s22, s22, 8
	v_add3_u32 v4, v8, v9, v4
	v_sub_co_u32 v5, vcc_lo, v5, v7
	s_addc_u32 s23, s23, 0
	s_add_u32 s24, s24, 8
	v_sub_co_ci_u32_e32 v4, vcc_lo, v6, v4, vcc_lo
	s_addc_u32 s25, s25, 0
	s_waitcnt lgkmcnt(0)
	v_mul_lo_u32 v6, s0, v4
	v_mul_lo_u32 v7, s1, v5
	v_mad_u64_u32 v[1:2], null, s0, v5, v[1:2]
	v_mul_lo_u32 v4, s28, v4
	v_mul_lo_u32 v8, s29, v5
	v_mad_u64_u32 v[144:145], null, s28, v5, v[144:145]
	v_cmp_ge_u64_e64 s0, s[26:27], s[10:11]
	v_add3_u32 v2, v7, v2, v6
	v_add3_u32 v145, v8, v145, v4
	s_and_b32 vcc_lo, exec_lo, s0
	s_cbranch_vccnz .LBB0_9
; %bb.7:                                ;   in Loop: Header=BB0_2 Depth=1
	v_mov_b32_e32 v5, v146
	v_mov_b32_e32 v6, v147
	s_branch .LBB0_2
.LBB0_8:
	v_mov_b32_e32 v145, v2
	v_mov_b32_e32 v147, v6
	;; [unrolled: 1-line block ×4, first 2 shown]
.LBB0_9:
	s_load_dwordx2 s[0:1], s[4:5], 0x28
	v_mul_hi_u32 v3, 0x4ec4ec5, v0
	s_lshl_b64 s[6:7], s[10:11], 3
                                        ; implicit-def: $vgpr198
                                        ; implicit-def: $vgpr199
                                        ; implicit-def: $vgpr200
                                        ; implicit-def: $vgpr201
                                        ; implicit-def: $vgpr202
                                        ; implicit-def: $vgpr203
                                        ; implicit-def: $vgpr204
                                        ; implicit-def: $vgpr106
                                        ; implicit-def: $vgpr107
                                        ; implicit-def: $vgpr108
	s_add_u32 s4, s18, s6
	s_addc_u32 s5, s19, s7
	s_waitcnt lgkmcnt(0)
	v_cmp_gt_u64_e32 vcc_lo, s[0:1], v[146:147]
	v_cmp_le_u64_e64 s0, s[0:1], v[146:147]
	s_and_saveexec_b32 s1, s0
	s_xor_b32 s0, exec_lo, s1
; %bb.10:
	v_mul_u32_u24_e32 v1, 52, v3
                                        ; implicit-def: $vgpr3
	v_sub_nc_u32_e32 v198, v0, v1
                                        ; implicit-def: $vgpr0
                                        ; implicit-def: $vgpr1_vgpr2
	v_add_nc_u32_e32 v199, 52, v198
	v_add_nc_u32_e32 v200, 0x68, v198
	;; [unrolled: 1-line block ×9, first 2 shown]
; %bb.11:
	s_or_saveexec_b32 s1, s0
                                        ; implicit-def: $vgpr96_vgpr97
                                        ; implicit-def: $vgpr92_vgpr93
                                        ; implicit-def: $vgpr72_vgpr73
                                        ; implicit-def: $vgpr4_vgpr5
                                        ; implicit-def: $vgpr20_vgpr21
                                        ; implicit-def: $vgpr8_vgpr9
                                        ; implicit-def: $vgpr24_vgpr25
                                        ; implicit-def: $vgpr12_vgpr13
                                        ; implicit-def: $vgpr56_vgpr57
                                        ; implicit-def: $vgpr28_vgpr29
                                        ; implicit-def: $vgpr60_vgpr61
                                        ; implicit-def: $vgpr32_vgpr33
                                        ; implicit-def: $vgpr64_vgpr65
                                        ; implicit-def: $vgpr36_vgpr37
                                        ; implicit-def: $vgpr68_vgpr69
                                        ; implicit-def: $vgpr44_vgpr45
                                        ; implicit-def: $vgpr76_vgpr77
                                        ; implicit-def: $vgpr40_vgpr41
                                        ; implicit-def: $vgpr80_vgpr81
                                        ; implicit-def: $vgpr52_vgpr53
                                        ; implicit-def: $vgpr84_vgpr85
                                        ; implicit-def: $vgpr48_vgpr49
                                        ; implicit-def: $vgpr88_vgpr89
                                        ; implicit-def: $vgpr16_vgpr17
                                        ; implicit-def: $vgpr104_vgpr105
                                        ; implicit-def: $vgpr100_vgpr101
	s_xor_b32 exec_lo, exec_lo, s1
	s_cbranch_execz .LBB0_13
; %bb.12:
	s_add_u32 s6, s16, s6
	s_addc_u32 s7, s17, s7
	v_mul_u32_u24_e32 v3, 52, v3
	s_load_dwordx2 s[6:7], s[6:7], 0x0
	v_sub_nc_u32_e32 v198, v0, v3
	v_lshlrev_b64 v[0:1], 4, v[1:2]
	v_mad_u64_u32 v[3:4], null, s20, v198, 0
	v_add_nc_u32_e32 v14, 0x2a4, v198
	v_add_nc_u32_e32 v199, 52, v198
	v_add_nc_u32_e32 v17, 0x2d8, v198
	v_add_nc_u32_e32 v200, 0x68, v198
	v_add_nc_u32_e32 v201, 0x9c, v198
	v_mad_u64_u32 v[5:6], null, s20, v14, 0
	v_mov_b32_e32 v2, v4
	v_mad_u64_u32 v[7:8], null, s20, v199, 0
	s_waitcnt lgkmcnt(0)
	v_mul_lo_u32 v4, s7, v146
	v_mul_lo_u32 v15, s6, v147
	v_mad_u64_u32 v[9:10], null, s6, v146, 0
	v_mad_u64_u32 v[11:12], null, s21, v198, v[2:3]
	v_mov_b32_e32 v2, v6
	v_mov_b32_e32 v6, v8
	v_mad_u64_u32 v[12:13], null, s20, v17, 0
	v_add3_u32 v10, v10, v15, v4
	v_mad_u64_u32 v[14:15], null, s21, v14, v[2:3]
	v_mov_b32_e32 v4, v11
	v_mad_u64_u32 v[15:16], null, s20, v200, 0
	v_lshlrev_b64 v[8:9], 4, v[9:10]
	v_mad_u64_u32 v[10:11], null, s21, v199, v[6:7]
	v_mov_b32_e32 v6, v14
	v_lshlrev_b64 v[3:4], 4, v[3:4]
	v_mov_b32_e32 v2, v13
	v_add_co_u32 v11, s0, s12, v8
	v_add_co_ci_u32_e64 v9, s0, s13, v9, s0
	v_mov_b32_e32 v8, v10
	v_add_co_u32 v10, s0, v11, v0
	v_add_co_ci_u32_e64 v11, s0, v9, v1, s0
	v_lshlrev_b64 v[5:6], 4, v[5:6]
	v_add_co_u32 v0, s0, v10, v3
	v_add_co_ci_u32_e64 v1, s0, v11, v4, s0
	v_mad_u64_u32 v[13:14], null, s21, v17, v[2:3]
	v_add_co_u32 v2, s0, v10, v5
	v_add_co_ci_u32_e64 v3, s0, v11, v6, s0
	v_add_nc_u32_e32 v14, 0x30c, v198
	v_mov_b32_e32 v6, v16
	v_lshlrev_b64 v[4:5], 4, v[7:8]
	v_or_b32_e32 v21, 0x340, v198
	v_add_nc_u32_e32 v202, 0xd0, v198
	v_mad_u64_u32 v[17:18], null, s20, v14, 0
	v_mad_u64_u32 v[6:7], null, s21, v200, v[6:7]
	v_lshlrev_b64 v[7:8], 4, v[12:13]
	v_add_co_u32 v4, s0, v10, v4
	v_add_co_ci_u32_e64 v5, s0, v11, v5, s0
	v_mov_b32_e32 v9, v18
	v_mov_b32_e32 v16, v6
	v_add_co_u32 v6, s0, v10, v7
	v_mad_u64_u32 v[12:13], null, s20, v201, 0
	v_mad_u64_u32 v[18:19], null, s21, v14, v[9:10]
	v_add_co_ci_u32_e64 v7, s0, v11, v8, s0
	v_lshlrev_b64 v[8:9], 4, v[15:16]
	v_mad_u64_u32 v[14:15], null, s20, v21, 0
	v_add_nc_u32_e32 v27, 0x374, v198
	v_lshlrev_b64 v[16:17], 4, v[17:18]
	v_add_nc_u32_e32 v203, 0x104, v198
	v_add_co_u32 v8, s0, v10, v8
	v_add_co_ci_u32_e64 v9, s0, v11, v9, s0
	v_mad_u64_u32 v[19:20], null, s21, v201, v[13:14]
	v_mad_u64_u32 v[20:21], null, s21, v21, v[15:16]
	v_add_co_u32 v21, s0, v10, v16
	v_mad_u64_u32 v[23:24], null, s20, v27, 0
	v_mov_b32_e32 v13, v19
	v_mad_u64_u32 v[18:19], null, s20, v202, 0
	v_add_co_ci_u32_e64 v22, s0, v11, v17, s0
	v_mov_b32_e32 v15, v20
	v_lshlrev_b64 v[12:13], 4, v[12:13]
	v_mad_u64_u32 v[25:26], null, s20, v203, 0
	v_mov_b32_e32 v16, v19
	v_lshlrev_b64 v[14:15], 4, v[14:15]
	v_add_nc_u32_e32 v20, 0x3a8, v198
	v_add_co_u32 v12, s0, v10, v12
	v_mad_u64_u32 v[16:17], null, s21, v202, v[16:17]
	v_mov_b32_e32 v17, v24
	v_add_co_ci_u32_e64 v13, s0, v11, v13, s0
	v_add_nc_u32_e32 v204, 0x138, v198
	v_add_nc_u32_e32 v37, 0x16c, v198
	;; [unrolled: 1-line block ×3, first 2 shown]
	v_mov_b32_e32 v19, v16
	v_mad_u64_u32 v[16:17], null, s21, v27, v[17:18]
	v_add_co_u32 v27, s0, v10, v14
	v_add_co_ci_u32_e64 v28, s0, v11, v15, s0
	v_lshlrev_b64 v[14:15], 4, v[18:19]
	v_mad_u64_u32 v[18:19], null, s20, v20, 0
	v_mov_b32_e32 v17, v26
	v_mov_b32_e32 v24, v16
	v_add_nc_u32_e32 v45, 0x1d4, v198
	v_add_co_u32 v29, s0, v10, v14
	v_add_co_ci_u32_e64 v30, s0, v11, v15, s0
	v_mad_u64_u32 v[16:17], null, s21, v203, v[17:18]
	v_mov_b32_e32 v17, v19
	v_lshlrev_b64 v[14:15], 4, v[23:24]
	v_mad_u64_u32 v[23:24], null, s20, v204, 0
	v_add_nc_u32_e32 v107, 0x208, v198
	v_add_nc_u32_e32 v47, 0x23c, v198
	v_mov_b32_e32 v26, v16
	v_mad_u64_u32 v[16:17], null, s21, v20, v[17:18]
	v_add_co_u32 v31, s0, v10, v14
	v_add_nc_u32_e32 v20, 0x3dc, v198
	v_add_co_ci_u32_e64 v32, s0, v11, v15, s0
	v_lshlrev_b64 v[14:15], 4, v[25:26]
	v_mov_b32_e32 v17, v24
	v_mov_b32_e32 v19, v16
	v_mad_u64_u32 v[25:26], null, s20, v20, 0
	v_add_nc_u32_e32 v108, 0x270, v198
	v_add_co_u32 v33, s0, v10, v14
	v_mad_u64_u32 v[16:17], null, s21, v204, v[17:18]
	v_add_co_ci_u32_e64 v34, s0, v11, v15, s0
	v_lshlrev_b64 v[14:15], 4, v[18:19]
	v_mad_u64_u32 v[18:19], null, s20, v37, 0
	v_mov_b32_e32 v17, v26
	v_mov_b32_e32 v24, v16
	s_clause 0x1
	global_load_dwordx4 v[98:101], v[0:1], off
	global_load_dwordx4 v[94:97], v[2:3], off
	v_add_co_u32 v35, s0, v10, v14
	v_add_co_ci_u32_e64 v36, s0, v11, v15, s0
	v_mad_u64_u32 v[16:17], null, s21, v20, v[17:18]
	v_add_nc_u32_e32 v20, 0x410, v198
	v_lshlrev_b64 v[14:15], 4, v[23:24]
	v_mov_b32_e32 v17, v19
	s_clause 0x1
	global_load_dwordx4 v[90:93], v[4:5], off
	global_load_dwordx4 v[102:105], v[6:7], off
	v_mad_u64_u32 v[23:24], null, s20, v20, 0
	v_mov_b32_e32 v26, v16
	v_mad_u64_u32 v[16:17], null, s21, v37, v[17:18]
	v_add_co_u32 v37, s0, v10, v14
	v_add_co_ci_u32_e64 v38, s0, v11, v15, s0
	v_mov_b32_e32 v17, v24
	v_lshlrev_b64 v[14:15], 4, v[25:26]
	v_mov_b32_e32 v19, v16
	v_mad_u64_u32 v[25:26], null, s20, v106, 0
	v_mad_u64_u32 v[16:17], null, s21, v20, v[17:18]
	v_add_nc_u32_e32 v20, 0x444, v198
	v_add_co_u32 v39, s0, v10, v14
	v_add_co_ci_u32_e64 v40, s0, v11, v15, s0
	v_lshlrev_b64 v[14:15], 4, v[18:19]
	v_mad_u64_u32 v[18:19], null, s20, v20, 0
	v_mov_b32_e32 v17, v26
	v_mov_b32_e32 v24, v16
	v_add_co_u32 v41, s0, v10, v14
	v_add_co_ci_u32_e64 v42, s0, v11, v15, s0
	v_mad_u64_u32 v[16:17], null, s21, v106, v[17:18]
	v_mov_b32_e32 v17, v19
	v_lshlrev_b64 v[14:15], 4, v[23:24]
	v_mad_u64_u32 v[23:24], null, s20, v45, 0
	v_mov_b32_e32 v26, v16
	v_mad_u64_u32 v[16:17], null, s21, v20, v[17:18]
	v_add_co_u32 v43, s0, v10, v14
	v_add_nc_u32_e32 v20, 0x478, v198
	v_add_co_ci_u32_e64 v44, s0, v11, v15, s0
	v_lshlrev_b64 v[14:15], 4, v[25:26]
	v_mov_b32_e32 v17, v24
	v_mov_b32_e32 v19, v16
	v_mad_u64_u32 v[25:26], null, s20, v20, 0
	v_add_co_u32 v54, s0, v10, v14
	v_mad_u64_u32 v[16:17], null, s21, v45, v[17:18]
	v_add_co_ci_u32_e64 v55, s0, v11, v15, s0
	v_lshlrev_b64 v[14:15], 4, v[18:19]
	v_mad_u64_u32 v[18:19], null, s20, v107, 0
	v_mov_b32_e32 v17, v26
	v_mov_b32_e32 v24, v16
	v_mad_u64_u32 v[45:46], null, s20, v47, 0
	v_add_co_u32 v56, s0, v10, v14
	v_mad_u64_u32 v[16:17], null, s21, v20, v[17:18]
	v_add_nc_u32_e32 v20, 0x4ac, v198
	v_add_co_ci_u32_e64 v57, s0, v11, v15, s0
	v_lshlrev_b64 v[14:15], 4, v[23:24]
	v_mov_b32_e32 v17, v19
	v_mad_u64_u32 v[23:24], null, s20, v20, 0
	v_mov_b32_e32 v26, v16
	v_mad_u64_u32 v[16:17], null, s21, v107, v[17:18]
	v_add_co_u32 v58, s0, v10, v14
	v_mov_b32_e32 v14, v24
	v_lshlrev_b64 v[24:25], 4, v[25:26]
	v_add_co_ci_u32_e64 v59, s0, v11, v15, s0
	v_mov_b32_e32 v19, v16
	v_mad_u64_u32 v[14:15], null, s21, v20, v[14:15]
	v_mov_b32_e32 v17, v46
	v_add_nc_u32_e32 v20, 0x4e0, v198
	v_add_co_u32 v60, s0, v10, v24
	v_lshlrev_b64 v[15:16], 4, v[18:19]
	v_mad_u64_u32 v[17:18], null, s21, v47, v[17:18]
	v_add_co_ci_u32_e64 v61, s0, v11, v25, s0
	v_mad_u64_u32 v[18:19], null, s20, v20, 0
	v_mad_u64_u32 v[25:26], null, s20, v108, 0
	v_mov_b32_e32 v24, v14
	v_add_nc_u32_e32 v47, 0x514, v198
	v_add_co_u32 v62, s0, v10, v15
	v_add_co_ci_u32_e64 v63, s0, v11, v16, s0
	v_lshlrev_b64 v[14:15], 4, v[23:24]
	v_mad_u64_u32 v[23:24], null, s20, v47, 0
	v_mov_b32_e32 v16, v19
	v_mov_b32_e32 v46, v17
	v_mov_b32_e32 v17, v26
	v_add_co_u32 v64, s0, v10, v14
	v_add_co_ci_u32_e64 v65, s0, v11, v15, s0
	v_mad_u64_u32 v[19:20], null, s21, v20, v[16:17]
	v_mad_u64_u32 v[16:17], null, s21, v108, v[17:18]
	v_mov_b32_e32 v17, v24
	v_lshlrev_b64 v[14:15], 4, v[45:46]
	v_mad_u64_u32 v[0:1], null, s21, v47, v[17:18]
	v_mov_b32_e32 v26, v16
	v_lshlrev_b64 v[1:2], 4, v[18:19]
	v_add_co_u32 v66, s0, v10, v14
	v_add_co_ci_u32_e64 v67, s0, v11, v15, s0
	v_mov_b32_e32 v24, v0
	v_lshlrev_b64 v[3:4], 4, v[25:26]
	v_add_co_u32 v0, s0, v10, v1
	v_add_co_ci_u32_e64 v1, s0, v11, v2, s0
	v_lshlrev_b64 v[5:6], 4, v[23:24]
	v_add_co_u32 v109, s0, v10, v3
	v_add_co_ci_u32_e64 v110, s0, v11, v4, s0
	v_add_co_u32 v111, s0, v10, v5
	v_add_co_ci_u32_e64 v112, s0, v11, v6, s0
	s_clause 0x15
	global_load_dwordx4 v[14:17], v[8:9], off
	global_load_dwordx4 v[70:73], v[21:22], off
	;; [unrolled: 1-line block ×22, first 2 shown]
.LBB0_13:
	s_or_b32 exec_lo, exec_lo, s1
	s_waitcnt vmcnt(24)
	v_add_f64 v[111:112], v[98:99], -v[94:95]
	s_waitcnt vmcnt(22)
	v_add_f64 v[115:116], v[90:91], -v[102:103]
	;; [unrolled: 2-line block ×9, first 2 shown]
	v_add_f64 v[96:97], v[100:101], -v[96:97]
	v_add_f64 v[102:103], v[92:93], -v[104:105]
	;; [unrolled: 1-line block ×4, first 2 shown]
	s_waitcnt vmcnt(2)
	v_add_f64 v[162:163], v[30:31], -v[66:67]
	s_waitcnt vmcnt(0)
	v_add_f64 v[166:167], v[34:35], -v[62:63]
	v_add_f64 v[86:87], v[8:9], -v[84:85]
	;; [unrolled: 1-line block ×5, first 2 shown]
	v_lshl_add_u32 v78, v198, 4, 0
	v_lshl_add_u32 v79, v199, 4, 0
	;; [unrolled: 1-line block ×3, first 2 shown]
	v_fma_f64 v[109:110], v[98:99], 2.0, -v[111:112]
	v_fma_f64 v[113:114], v[90:91], 2.0, -v[115:116]
	;; [unrolled: 1-line block ×7, first 2 shown]
	v_add_f64 v[50:51], v[48:49], -v[20:21]
	v_add_f64 v[90:91], v[12:13], -v[80:81]
	v_fma_f64 v[148:149], v[38:39], 2.0, -v[150:151]
	v_fma_f64 v[156:157], v[42:43], 2.0, -v[158:159]
	v_add_f64 v[42:43], v[40:41], -v[56:57]
	v_add_f64 v[38:39], v[36:37], -v[64:65]
	v_lshl_add_u32 v98, v201, 4, 0
	v_lshl_add_u32 v141, v106, 4, 0
	v_fma_f64 v[94:95], v[100:101], 2.0, -v[96:97]
	v_fma_f64 v[100:101], v[92:93], 2.0, -v[102:103]
	v_lshl_add_u32 v92, v107, 4, 0
	v_lshlrev_b32_e32 v0, 3, v106
	v_lshlrev_b32_e32 v1, 3, v107
	v_add_f64 v[106:107], v[28:29], -v[76:77]
	v_lshl_add_u32 v205, v202, 4, 0
	v_add_f64 v[46:47], v[44:45], -v[60:61]
	v_lshl_add_u32 v99, v203, 4, 0
	v_lshl_add_u32 v192, v204, 4, 0
	ds_write_b128 v78, v[109:112]
	ds_write_b128 v79, v[113:116]
	;; [unrolled: 1-line block ×7, first 2 shown]
	v_add_f64 v[110:111], v[32:33], -v[68:69]
	v_fma_f64 v[137:138], v[10:11], 2.0, -v[139:140]
	v_fma_f64 v[152:153], v[26:27], 2.0, -v[154:155]
	;; [unrolled: 1-line block ×12, first 2 shown]
	v_lshl_add_u32 v206, v198, 3, 0
	v_lshlrev_b32_e32 v196, 3, v202
	v_lshlrev_b32_e32 v197, 3, v204
	v_fma_f64 v[104:105], v[28:29], 2.0, -v[106:107]
	v_lshl_add_u32 v93, v108, 4, 0
	v_fma_f64 v[44:45], v[44:45], 2.0, -v[46:47]
	v_lshlrev_b32_e32 v2, 3, v108
	v_lshlrev_b32_e32 v195, 3, v200
	v_sub_nc_u32_e32 v194, v205, v196
	v_fma_f64 v[108:109], v[32:33], 2.0, -v[110:111]
	v_sub_nc_u32_e32 v218, v192, v197
	v_sub_nc_u32_e32 v217, v141, v0
	;; [unrolled: 1-line block ×3, first 2 shown]
	v_add_nc_u32_e32 v210, 0x1800, v206
	v_add_nc_u32_e32 v213, 0x1c00, v206
	;; [unrolled: 1-line block ×3, first 2 shown]
	v_and_b32_e32 v220, 1, v198
	v_sub_nc_u32_e32 v215, v93, v2
	v_add_nc_u32_e32 v212, 0x800, v206
	v_sub_nc_u32_e32 v193, v207, v195
	v_add_nc_u32_e32 v219, 0xc00, v206
	v_lshl_add_u32 v211, v199, 3, 0
	ds_write_b128 v78, v[137:140] offset:5824
	ds_write_b128 v141, v[148:151]
	ds_write_b128 v78, v[152:155] offset:7488
	ds_write_b128 v92, v[156:159]
	s_load_dwordx2 s[4:5], s[4:5], 0x0
	ds_write_b128 v78, v[160:163] offset:9152
	ds_write_b128 v93, v[164:167]
	s_waitcnt lgkmcnt(0)
	s_barrier
	buffer_gl0_inv
	v_add_nc_u32_e32 v209, 0x1000, v206
	ds_read_b64 v[66:67], v194
	ds_read_b64 v[76:77], v217
	;; [unrolled: 1-line block ×7, first 2 shown]
	ds_read_b64 v[64:65], v206 offset:10400
	ds_read2_b64 v[0:3], v206 offset1:156
	ds_read2_b64 v[24:27], v209 offset0:164 offset1:216
	ds_read2_b64 v[20:23], v210 offset0:12 offset1:64
	;; [unrolled: 1-line block ×8, first 2 shown]
	s_waitcnt lgkmcnt(0)
	s_barrier
	buffer_gl0_inv
	ds_write_b128 v78, v[94:97]
	ds_write_b128 v79, v[100:103]
	;; [unrolled: 1-line block ×7, first 2 shown]
	ds_write_b128 v78, v[88:91] offset:5824
	v_mul_u32_u24_e32 v48, 12, v220
	ds_write_b128 v141, v[40:43]
	ds_write_b128 v78, v[104:107] offset:7488
	ds_write_b128 v92, v[44:47]
	ds_write_b128 v78, v[108:111] offset:9152
	ds_write_b128 v93, v[36:39]
	s_waitcnt lgkmcnt(0)
	s_barrier
	v_lshlrev_b32_e32 v60, 4, v48
	buffer_gl0_inv
	s_clause 0xb
	global_load_dwordx4 v[56:59], v60, s[8:9] offset:16
	global_load_dwordx4 v[52:55], v60, s[8:9] offset:32
	;; [unrolled: 1-line block ×7, first 2 shown]
	global_load_dwordx4 v[112:115], v60, s[8:9]
	global_load_dwordx4 v[100:103], v60, s[8:9] offset:112
	global_load_dwordx4 v[116:119], v60, s[8:9] offset:128
	;; [unrolled: 1-line block ×4, first 2 shown]
	ds_read_b64 v[60:61], v194
	ds_read_b64 v[150:151], v215
	ds_read2_b64 v[82:85], v212 offset0:4 offset1:108
	ds_read_b64 v[86:87], v218
	ds_read_b64 v[94:95], v217
	;; [unrolled: 1-line block ×3, first 2 shown]
	ds_read2_b64 v[90:93], v219 offset0:84 offset1:188
	ds_read2_b64 v[128:131], v209 offset0:164 offset1:216
	;; [unrolled: 1-line block ×4, first 2 shown]
	s_mov_b32 s22, 0x2ef20147
	s_mov_b32 s23, 0xbfedeba7
	;; [unrolled: 1-line block ×36, first 2 shown]
	v_cmp_gt_u32_e64 s0, 26, v198
	s_waitcnt vmcnt(11) lgkmcnt(9)
	v_mul_f64 v[88:89], v[60:61], v[58:59]
	v_mul_f64 v[96:97], v[66:67], v[58:59]
	s_waitcnt lgkmcnt(7)
	v_mul_f64 v[98:99], v[82:83], v[58:59]
	v_mul_f64 v[106:107], v[32:33], v[58:59]
	s_waitcnt vmcnt(10)
	v_mul_f64 v[108:109], v[84:85], v[54:55]
	v_mul_f64 v[140:141], v[34:35], v[54:55]
	s_waitcnt lgkmcnt(6)
	v_mul_f64 v[148:149], v[86:87], v[54:55]
	v_mul_f64 v[152:153], v[74:75], v[54:55]
	s_waitcnt vmcnt(9)
	v_mul_f64 v[156:157], v[76:77], v[50:51]
	s_waitcnt lgkmcnt(5)
	v_mul_f64 v[154:155], v[94:95], v[50:51]
	s_waitcnt lgkmcnt(3)
	v_mul_f64 v[158:159], v[90:91], v[50:51]
	s_waitcnt vmcnt(4)
	v_mul_f64 v[160:161], v[70:71], v[114:115]
	v_fma_f64 v[110:111], v[66:67], v[56:57], v[88:89]
	v_mul_f64 v[66:67], v[28:29], v[50:51]
	v_fma_f64 v[104:105], v[60:61], v[56:57], -v[96:97]
	v_mul_f64 v[96:97], v[92:93], v[46:47]
	v_fma_f64 v[58:59], v[32:33], v[56:57], v[98:99]
	v_fma_f64 v[60:61], v[82:83], v[56:57], -v[106:107]
	v_mul_f64 v[82:83], v[30:31], v[46:47]
	v_fma_f64 v[54:55], v[34:35], v[52:53], v[108:109]
	v_mul_f64 v[108:109], v[142:143], v[46:47]
	v_fma_f64 v[56:57], v[84:85], v[52:53], -v[140:141]
	v_mul_f64 v[140:141], v[72:73], v[46:47]
	v_fma_f64 v[106:107], v[74:75], v[52:53], v[148:149]
	s_waitcnt lgkmcnt(2)
	v_mul_f64 v[148:149], v[130:131], v[38:39]
	v_fma_f64 v[98:99], v[86:87], v[52:53], -v[152:153]
	v_mul_f64 v[52:53], v[128:129], v[42:43]
	v_mul_f64 v[152:153], v[6:7], v[80:81]
	v_fma_f64 v[94:95], v[94:95], v[48:49], -v[156:157]
	v_mul_f64 v[156:157], v[68:69], v[42:43]
	ds_read2_b64 v[32:35], v208 offset0:172 offset1:224
	ds_read_b64 v[84:85], v193
	v_fma_f64 v[88:89], v[76:77], v[48:49], v[154:155]
	v_mul_f64 v[154:155], v[150:151], v[42:43]
	v_fma_f64 v[50:51], v[28:29], v[48:49], v[158:159]
	v_fma_f64 v[48:49], v[90:91], v[48:49], -v[66:67]
	v_mul_f64 v[158:159], v[24:25], v[42:43]
	v_fma_f64 v[42:43], v[30:31], v[44:45], v[96:97]
	v_mul_f64 v[30:31], v[26:27], v[38:39]
	s_waitcnt lgkmcnt(3)
	v_mul_f64 v[96:97], v[132:133], v[38:39]
	v_fma_f64 v[46:47], v[92:93], v[44:45], -v[82:83]
	v_mul_f64 v[38:39], v[20:21], v[38:39]
	v_fma_f64 v[86:87], v[72:73], v[44:45], v[108:109]
	ds_read2_b64 v[74:77], v213 offset0:92 offset1:144
	v_fma_f64 v[90:91], v[142:143], v[44:45], -v[140:141]
	s_waitcnt vmcnt(3)
	v_mul_f64 v[44:45], v[22:23], v[102:103]
	v_fma_f64 v[66:67], v[26:27], v[36:37], v[148:149]
	ds_read2_b64 v[140:143], v208 offset0:68 offset1:120
	v_fma_f64 v[28:29], v[24:25], v[40:41], v[52:53]
	s_waitcnt lgkmcnt(4)
	v_mul_f64 v[52:53], v[136:137], v[102:103]
	s_waitcnt lgkmcnt(3)
	v_mul_f64 v[72:73], v[34:35], v[80:81]
	v_fma_f64 v[24:25], v[34:35], v[78:79], -v[152:153]
	v_fma_f64 v[82:83], v[150:151], v[40:41], -v[156:157]
	ds_read_b64 v[150:151], v206 offset:10400
	s_waitcnt lgkmcnt(3)
	v_mul_f64 v[108:109], v[84:85], v[114:115]
	v_fma_f64 v[26:27], v[84:85], v[112:113], -v[160:161]
	v_mul_f64 v[92:93], v[134:135], v[102:103]
	v_fma_f64 v[68:69], v[68:69], v[40:41], v[154:155]
	v_mul_f64 v[102:103], v[16:17], v[102:103]
	s_waitcnt vmcnt(2)
	v_mul_f64 v[148:149], v[138:139], v[118:119]
	v_fma_f64 v[34:35], v[128:129], v[40:41], -v[158:159]
	v_mul_f64 v[40:41], v[18:19], v[118:119]
	v_fma_f64 v[84:85], v[130:131], v[36:37], -v[30:31]
	s_waitcnt lgkmcnt(2)
	v_mul_f64 v[152:153], v[74:75], v[118:119]
	v_mul_f64 v[118:119], v[12:13], v[118:119]
	v_fma_f64 v[30:31], v[20:21], v[36:37], v[96:97]
	v_fma_f64 v[38:39], v[132:133], v[36:37], -v[38:39]
	s_waitcnt vmcnt(1)
	v_mul_f64 v[20:21], v[76:77], v[122:123]
	v_mul_f64 v[36:37], v[14:15], v[122:123]
	v_fma_f64 v[96:97], v[134:135], v[100:101], -v[44:45]
	ds_read2_b64 v[128:131], v206 offset1:156
	v_fma_f64 v[132:133], v[6:7], v[78:79], v[72:73]
	v_fma_f64 v[6:7], v[16:17], v[100:101], v[52:53]
	s_waitcnt vmcnt(0) lgkmcnt(2)
	v_mul_f64 v[16:17], v[142:143], v[126:127]
	v_mul_f64 v[52:53], v[10:11], v[126:127]
	v_fma_f64 v[72:73], v[70:71], v[112:113], v[108:109]
	v_add_f64 v[134:135], v[26:27], -v[24:25]
	v_fma_f64 v[92:93], v[22:23], v[100:101], v[92:93]
	v_mul_f64 v[70:71], v[140:141], v[122:123]
	v_mul_f64 v[122:123], v[8:9], v[122:123]
	v_fma_f64 v[22:23], v[136:137], v[100:101], -v[102:103]
	v_fma_f64 v[102:103], v[18:19], v[116:117], v[148:149]
	v_mul_f64 v[18:19], v[32:33], v[126:127]
	v_fma_f64 v[100:101], v[138:139], v[116:117], -v[40:41]
	s_waitcnt lgkmcnt(1)
	v_mul_f64 v[136:137], v[150:151], v[80:81]
	v_fma_f64 v[44:45], v[12:13], v[116:117], v[152:153]
	v_fma_f64 v[40:41], v[74:75], v[116:117], -v[118:119]
	v_add_f64 v[74:75], v[26:27], v[24:25]
	v_mul_f64 v[12:13], v[64:65], v[80:81]
	v_fma_f64 v[108:109], v[14:15], v[120:121], v[20:21]
	v_mul_f64 v[14:15], v[2:3], v[114:115]
	v_fma_f64 v[80:81], v[76:77], v[120:121], -v[36:37]
	v_mul_f64 v[126:127], v[4:5], v[126:127]
	s_waitcnt lgkmcnt(0)
	v_mul_f64 v[118:119], v[130:131], v[114:115]
	v_fma_f64 v[116:117], v[10:11], v[124:125], v[16:17]
	v_add_f64 v[76:77], v[72:73], v[132:133]
	v_mul_f64 v[16:17], v[134:135], s[22:23]
	v_mul_f64 v[114:115], v[134:135], s[6:7]
	v_fma_f64 v[8:9], v[8:9], v[120:121], v[70:71]
	v_mul_f64 v[138:139], v[134:135], s[12:13]
	v_fma_f64 v[20:21], v[140:141], v[120:121], -v[122:123]
	v_mul_f64 v[120:121], v[134:135], s[18:19]
	v_fma_f64 v[70:71], v[142:143], v[124:125], -v[52:53]
	v_mul_f64 v[52:53], v[134:135], s[26:27]
	v_fma_f64 v[4:5], v[4:5], v[124:125], v[18:19]
	v_mul_f64 v[18:19], v[134:135], s[30:31]
	v_fma_f64 v[10:11], v[64:65], v[78:79], v[136:137]
	v_add_f64 v[64:65], v[72:73], -v[132:133]
	v_mul_f64 v[122:123], v[74:75], s[10:11]
	v_fma_f64 v[36:37], v[150:151], v[78:79], -v[12:13]
	v_fma_f64 v[12:13], v[130:131], v[112:113], -v[14:15]
	v_mul_f64 v[14:15], v[74:75], s[24:25]
	v_fma_f64 v[32:33], v[32:33], v[124:125], -v[126:127]
	v_mul_f64 v[78:79], v[74:75], s[16:17]
	v_fma_f64 v[2:3], v[2:3], v[112:113], v[118:119]
	v_mul_f64 v[118:119], v[74:75], s[20:21]
	v_add_f64 v[134:135], v[0:1], v[72:73]
	v_fma_f64 v[142:143], v[76:77], s[24:25], v[16:17]
	v_fma_f64 v[72:73], v[76:77], s[10:11], v[114:115]
	v_fma_f64 v[112:113], v[76:77], s[10:11], -v[114:115]
	v_fma_f64 v[114:115], v[76:77], s[16:17], v[138:139]
	v_fma_f64 v[124:125], v[76:77], s[16:17], -v[138:139]
	;; [unrolled: 2-line block ×3, first 2 shown]
	v_fma_f64 v[16:17], v[76:77], s[24:25], -v[16:17]
	v_fma_f64 v[148:149], v[76:77], s[28:29], v[52:53]
	v_fma_f64 v[52:53], v[76:77], s[28:29], -v[52:53]
	v_fma_f64 v[154:155], v[76:77], s[34:35], v[18:19]
	v_fma_f64 v[18:19], v[76:77], s[34:35], -v[18:19]
	v_mul_f64 v[76:77], v[74:75], s[28:29]
	v_mul_f64 v[74:75], v[74:75], s[34:35]
	v_fma_f64 v[156:157], v[64:65], s[36:37], v[122:123]
	v_fma_f64 v[122:123], v[64:65], s[6:7], v[122:123]
	;; [unrolled: 1-line block ×8, first 2 shown]
	v_add_f64 v[186:187], v[0:1], v[142:143]
	v_add_f64 v[142:143], v[104:105], -v[70:71]
	v_add_f64 v[136:137], v[0:1], v[72:73]
	v_add_f64 v[120:121], v[0:1], v[112:113]
	;; [unrolled: 1-line block ×11, first 2 shown]
	v_fma_f64 v[126:127], v[64:65], s[40:41], v[74:75]
	v_fma_f64 v[0:1], v[64:65], s[46:47], v[76:77]
	v_add_f64 v[14:15], v[128:129], v[122:123]
	v_add_f64 v[72:73], v[128:129], v[162:163]
	;; [unrolled: 1-line block ×3, first 2 shown]
	v_fma_f64 v[52:53], v[64:65], s[26:27], v[76:77]
	v_fma_f64 v[130:131], v[64:65], s[30:31], v[74:75]
	v_add_f64 v[16:17], v[128:129], v[78:79]
	v_add_f64 v[78:79], v[128:129], v[160:161]
	v_add_f64 v[148:149], v[98:99], -v[80:81]
	v_mul_f64 v[162:163], v[142:143], s[30:31]
	v_mul_f64 v[160:161], v[142:143], s[22:23]
	v_add_f64 v[114:115], v[128:129], v[26:27]
	v_add_f64 v[18:19], v[128:129], v[118:119]
	;; [unrolled: 1-line block ×5, first 2 shown]
	v_add_f64 v[154:155], v[94:95], -v[100:101]
	v_add_f64 v[156:157], v[90:91], -v[96:97]
	v_add_f64 v[134:135], v[134:135], v[110:111]
	v_add_f64 v[110:111], v[110:111], -v[116:117]
	v_add_f64 v[64:65], v[128:129], v[126:127]
	v_add_f64 v[74:75], v[128:129], v[0:1]
	;; [unrolled: 1-line block ×4, first 2 shown]
	v_mul_f64 v[164:165], v[148:149], s[30:31]
	v_fma_f64 v[126:127], v[122:123], s[34:35], v[162:163]
	v_fma_f64 v[118:119], v[122:123], s[24:25], v[160:161]
	v_add_f64 v[114:115], v[114:115], v[104:105]
	v_mul_f64 v[168:169], v[154:155], s[46:47]
	v_mul_f64 v[170:171], v[154:155], s[36:37]
	;; [unrolled: 1-line block ×4, first 2 shown]
	v_add_f64 v[134:135], v[134:135], v[106:107]
	v_add_f64 v[126:127], v[126:127], v[124:125]
	v_add_f64 v[124:125], v[106:107], v[108:109]
	v_add_f64 v[118:119], v[118:119], v[166:167]
	v_mul_f64 v[166:167], v[148:149], s[44:45]
	v_add_f64 v[134:135], v[134:135], v[88:89]
	v_fma_f64 v[128:129], v[124:125], s[34:35], v[164:165]
	v_add_f64 v[134:135], v[134:135], v[86:87]
	v_add_f64 v[118:119], v[128:129], v[118:119]
	v_fma_f64 v[128:129], v[124:125], s[24:25], v[166:167]
	v_add_f64 v[134:135], v[134:135], v[68:69]
	v_add_f64 v[128:129], v[128:129], v[126:127]
	;; [unrolled: 1-line block ×4, first 2 shown]
	v_fma_f64 v[130:131], v[126:127], s[28:29], v[168:169]
	v_add_f64 v[134:135], v[134:135], v[92:93]
	v_add_f64 v[118:119], v[130:131], v[118:119]
	v_fma_f64 v[130:131], v[126:127], s[10:11], v[170:171]
	v_add_f64 v[134:135], v[134:135], v[102:103]
	v_add_f64 v[102:103], v[88:89], -v[102:103]
	v_add_f64 v[130:131], v[130:131], v[128:129]
	v_add_f64 v[128:129], v[86:87], v[92:93]
	v_add_f64 v[86:87], v[86:87], -v[92:93]
	v_add_f64 v[134:135], v[134:135], v[108:109]
	v_fma_f64 v[158:159], v[128:129], s[20:21], v[172:173]
	v_add_f64 v[134:135], v[134:135], v[116:117]
	v_add_f64 v[118:119], v[158:159], v[118:119]
	v_fma_f64 v[158:159], v[128:129], s[16:17], v[174:175]
	v_add_f64 v[132:133], v[134:135], v[132:133]
	v_add_f64 v[190:191], v[158:159], v[130:131]
	v_add_f64 v[158:159], v[82:83], -v[84:85]
	v_add_f64 v[130:131], v[68:69], v[66:67]
	v_mul_f64 v[176:177], v[158:159], s[36:37]
	v_fma_f64 v[178:179], v[130:131], s[10:11], v[176:177]
	v_add_f64 v[188:189], v[178:179], v[118:119]
	v_mul_f64 v[178:179], v[158:159], s[26:27]
	v_fma_f64 v[118:119], v[130:131], s[28:29], v[178:179]
	v_add_f64 v[190:191], v[118:119], v[190:191]
	v_lshrrev_b32_e32 v118, 1, v198
	v_mul_u32_u24_e32 v118, 26, v118
	v_or_b32_e32 v118, v118, v220
	v_lshl_add_u32 v214, v118, 3, 0
	ds_read_b64 v[118:119], v211
	s_waitcnt lgkmcnt(0)
	s_barrier
	buffer_gl0_inv
	ds_write2_b64 v214, v[188:189], v[190:191] offset0:4 offset1:6
	v_mul_f64 v[188:189], v[142:143], s[46:47]
	v_fma_f64 v[190:191], v[122:123], s[28:29], v[188:189]
	v_add_f64 v[186:187], v[190:191], v[186:187]
	v_mul_f64 v[190:191], v[142:143], s[38:39]
	v_fma_f64 v[221:222], v[122:123], s[20:21], v[190:191]
	v_add_f64 v[184:185], v[221:222], v[184:185]
	;; [unrolled: 3-line block ×10, first 2 shown]
	ds_write2_b64 v214, v[186:187], v[184:185] offset0:8 offset1:10
	v_mul_f64 v[184:185], v[142:143], s[36:37]
	v_mul_f64 v[142:143], v[142:143], s[12:13]
	v_fma_f64 v[186:187], v[122:123], s[10:11], v[184:185]
	v_fma_f64 v[184:185], v[122:123], s[10:11], -v[184:185]
	v_add_f64 v[182:183], v[186:187], v[182:183]
	v_add_f64 v[180:181], v[184:185], v[180:181]
	v_mul_f64 v[184:185], v[148:149], s[26:27]
	v_mul_f64 v[148:149], v[148:149], s[18:19]
	v_fma_f64 v[186:187], v[124:125], s[28:29], v[184:185]
	v_fma_f64 v[184:185], v[124:125], s[28:29], -v[184:185]
	v_add_f64 v[182:183], v[186:187], v[182:183]
	v_add_f64 v[180:181], v[184:185], v[180:181]
	v_mul_f64 v[184:185], v[154:155], s[42:43]
	v_fma_f64 v[186:187], v[126:127], s[16:17], v[184:185]
	v_fma_f64 v[184:185], v[126:127], s[16:17], -v[184:185]
	v_add_f64 v[182:183], v[186:187], v[182:183]
	v_add_f64 v[180:181], v[184:185], v[180:181]
	;; [unrolled: 5-line block ×4, first 2 shown]
	ds_write2_b64 v214, v[182:183], v[180:181] offset0:12 offset1:14
	v_fma_f64 v[180:181], v[122:123], s[28:29], -v[188:189]
	v_add_f64 v[150:151], v[180:181], v[150:151]
	v_fma_f64 v[180:181], v[122:123], s[20:21], -v[190:191]
	v_add_f64 v[152:153], v[180:181], v[152:153]
	;; [unrolled: 2-line block ×10, first 2 shown]
	ds_write2_b64 v214, v[152:153], v[150:151] offset0:16 offset1:18
	v_fma_f64 v[150:151], v[122:123], s[24:25], -v[160:161]
	v_add_f64 v[160:161], v[58:59], v[4:5]
	v_add_f64 v[138:139], v[150:151], v[138:139]
	v_fma_f64 v[150:151], v[122:123], s[34:35], -v[162:163]
	v_add_f64 v[162:163], v[48:49], -v[40:41]
	v_add_f64 v[140:141], v[150:151], v[140:141]
	v_fma_f64 v[150:151], v[122:123], s[16:17], v[142:143]
	v_fma_f64 v[122:123], v[122:123], s[16:17], -v[142:143]
	v_add_f64 v[136:137], v[150:151], v[136:137]
	v_fma_f64 v[150:151], v[124:125], s[34:35], -v[164:165]
	v_add_f64 v[120:121], v[122:123], v[120:121]
	v_add_f64 v[164:165], v[46:47], -v[22:23]
	v_add_f64 v[138:139], v[150:151], v[138:139]
	v_fma_f64 v[150:151], v[124:125], s[24:25], -v[166:167]
	v_mul_f64 v[186:187], v[164:165], s[12:13]
	v_add_f64 v[140:141], v[150:151], v[140:141]
	v_fma_f64 v[150:151], v[124:125], s[20:21], v[148:149]
	v_fma_f64 v[124:125], v[124:125], s[20:21], -v[148:149]
	v_add_f64 v[148:149], v[56:57], -v[20:21]
	v_add_f64 v[136:137], v[150:151], v[136:137]
	v_fma_f64 v[150:151], v[126:127], s[28:29], -v[168:169]
	v_add_f64 v[120:121], v[124:125], v[120:121]
	v_add_f64 v[138:139], v[150:151], v[138:139]
	v_fma_f64 v[150:151], v[126:127], s[10:11], -v[170:171]
	v_add_f64 v[140:141], v[150:151], v[140:141]
	v_mul_f64 v[150:151], v[154:155], s[22:23]
	v_fma_f64 v[152:153], v[126:127], s[24:25], v[150:151]
	v_fma_f64 v[126:127], v[126:127], s[24:25], -v[150:151]
	v_add_f64 v[150:151], v[54:55], v[8:9]
	v_add_f64 v[136:137], v[152:153], v[136:137]
	v_fma_f64 v[152:153], v[128:129], s[20:21], -v[172:173]
	v_add_f64 v[120:121], v[126:127], v[120:121]
	v_mul_f64 v[126:127], v[164:165], s[26:27]
	v_add_f64 v[138:139], v[152:153], v[138:139]
	v_fma_f64 v[152:153], v[128:129], s[16:17], -v[174:175]
	v_add_f64 v[140:141], v[152:153], v[140:141]
	v_mul_f64 v[152:153], v[156:157], s[26:27]
	v_fma_f64 v[154:155], v[128:129], s[28:29], v[152:153]
	v_fma_f64 v[134:135], v[128:129], s[28:29], -v[152:153]
	v_add_f64 v[136:137], v[154:155], v[136:137]
	v_fma_f64 v[154:155], v[130:131], s[10:11], -v[176:177]
	v_add_f64 v[120:121], v[134:135], v[120:121]
	v_add_f64 v[138:139], v[154:155], v[138:139]
	v_fma_f64 v[154:155], v[130:131], s[28:29], -v[178:179]
	v_add_f64 v[140:141], v[154:155], v[140:141]
	v_mul_f64 v[154:155], v[158:159], s[30:31]
	v_add_f64 v[158:159], v[60:61], -v[32:33]
	ds_write2_b64 v214, v[140:141], v[138:139] offset0:20 offset1:22
	v_fma_f64 v[152:153], v[130:131], s[34:35], -v[154:155]
	v_fma_f64 v[156:157], v[130:131], s[34:35], v[154:155]
	v_add_f64 v[139:140], v[2:3], v[10:11]
	v_mul_f64 v[141:142], v[158:159], s[12:13]
	v_mul_f64 v[154:155], v[148:149], s[18:19]
	;; [unrolled: 1-line block ×5, first 2 shown]
	v_add_f64 v[134:135], v[152:153], v[120:121]
	v_add_f64 v[136:137], v[156:157], v[136:137]
	v_add_f64 v[156:157], v[12:13], -v[36:37]
	v_fma_f64 v[128:129], v[160:161], s[16:17], v[141:142]
	v_add_f64 v[152:153], v[34:35], -v[38:39]
	v_add_f64 v[120:121], v[28:29], v[30:31]
	v_fma_f64 v[174:175], v[160:161], s[34:35], v[172:173]
	v_fma_f64 v[226:227], v[160:161], s[20:21], v[224:225]
	v_fma_f64 v[116:117], v[150:151], s[20:21], -v[154:155]
	ds_write_b64 v214, v[134:135] offset:192
	v_lshrrev_b32_e32 v134, 1, v199
	ds_write2_b64 v214, v[132:133], v[136:137] offset1:2
	v_mul_f64 v[136:137], v[156:157], s[6:7]
	v_mul_f64 v[170:171], v[156:157], s[18:19]
	v_mul_lo_u32 v134, v134, 26
	v_or_b32_e32 v138, v134, v220
	v_add_f64 v[134:135], v[62:63], v[2:3]
	v_add_f64 v[2:3], v[2:3], -v[10:11]
	v_lshl_add_u32 v138, v138, 3, 0
	v_fma_f64 v[132:133], v[139:140], s[10:11], v[136:137]
	v_fma_f64 v[136:137], v[139:140], s[10:11], -v[136:137]
	v_add_f64 v[134:135], v[134:135], v[58:59]
	v_add_f64 v[130:131], v[62:63], v[132:133]
	;; [unrolled: 1-line block ×4, first 2 shown]
	v_fma_f64 v[128:129], v[150:151], s[20:21], v[154:155]
	v_mul_f64 v[130:131], v[162:163], s[22:23]
	v_add_f64 v[134:135], v[134:135], v[50:51]
	v_add_f64 v[122:123], v[128:129], v[122:123]
	;; [unrolled: 1-line block ×4, first 2 shown]
	v_fma_f64 v[124:125], v[128:129], s[24:25], v[130:131]
	v_add_f64 v[134:135], v[134:135], v[28:29]
	v_add_f64 v[122:123], v[124:125], v[122:123]
	;; [unrolled: 1-line block ×3, first 2 shown]
	v_add_f64 v[42:43], v[42:43], -v[6:7]
	v_add_f64 v[134:135], v[134:135], v[30:31]
	v_fma_f64 v[132:133], v[124:125], s[28:29], v[126:127]
	v_add_f64 v[134:135], v[134:135], v[6:7]
	v_add_f64 v[132:133], v[132:133], v[122:123]
	v_mul_f64 v[122:123], v[152:153], s[30:31]
	v_add_f64 v[134:135], v[134:135], v[44:45]
	v_add_f64 v[44:45], v[50:51], -v[44:45]
	v_fma_f64 v[166:167], v[120:121], s[34:35], v[122:123]
	v_add_f64 v[134:135], v[134:135], v[8:9]
	v_add_f64 v[8:9], v[54:55], -v[8:9]
	v_add_f64 v[132:133], v[166:167], v[132:133]
	v_mul_f64 v[166:167], v[156:157], s[12:13]
	v_add_f64 v[134:135], v[134:135], v[4:5]
	v_add_f64 v[4:5], v[58:59], -v[4:5]
	v_add_f64 v[134:135], v[134:135], v[10:11]
	ds_write2_b64 v138, v[134:135], v[132:133] offset1:2
	v_fma_f64 v[132:133], v[139:140], s[16:17], v[166:167]
	v_fma_f64 v[134:135], v[160:161], s[24:25], v[168:169]
	v_add_f64 v[132:133], v[62:63], v[132:133]
	v_add_f64 v[132:133], v[134:135], v[132:133]
	v_fma_f64 v[134:135], v[139:140], s[20:21], v[170:171]
	v_add_f64 v[134:135], v[62:63], v[134:135]
	v_add_f64 v[134:135], v[174:175], v[134:135]
	v_mul_f64 v[174:175], v[148:149], s[30:31]
	v_fma_f64 v[176:177], v[150:151], s[34:35], v[174:175]
	v_add_f64 v[132:133], v[176:177], v[132:133]
	v_mul_f64 v[176:177], v[148:149], s[44:45]
	v_fma_f64 v[178:179], v[150:151], s[24:25], v[176:177]
	;; [unrolled: 3-line block ×5, first 2 shown]
	v_fma_f64 v[154:155], v[124:125], s[20:21], -v[182:183]
	v_add_f64 v[184:185], v[184:185], v[132:133]
	v_fma_f64 v[132:133], v[124:125], s[16:17], v[186:187]
	v_add_f64 v[188:189], v[132:133], v[134:135]
	v_mul_f64 v[132:133], v[152:153], s[36:37]
	v_fma_f64 v[134:135], v[120:121], s[10:11], v[132:133]
	v_fma_f64 v[132:133], v[120:121], s[10:11], -v[132:133]
	v_add_f64 v[184:185], v[134:135], v[184:185]
	v_mul_f64 v[134:135], v[152:153], s[26:27]
	v_fma_f64 v[190:191], v[120:121], s[28:29], v[134:135]
	v_fma_f64 v[134:135], v[120:121], s[28:29], -v[134:135]
	v_add_f64 v[188:189], v[190:191], v[188:189]
	v_mul_f64 v[190:191], v[158:159], s[46:47]
	v_mul_f64 v[158:159], v[158:159], s[36:37]
	ds_write2_b64 v138, v[184:185], v[188:189] offset0:4 offset1:6
	v_mul_f64 v[184:185], v[156:157], s[22:23]
	v_fma_f64 v[220:221], v[160:161], s[28:29], v[190:191]
	v_fma_f64 v[188:189], v[139:140], s[24:25], v[184:185]
	v_add_f64 v[188:189], v[62:63], v[188:189]
	v_add_f64 v[188:189], v[220:221], v[188:189]
	v_mul_f64 v[220:221], v[156:157], s[26:27]
	v_mul_f64 v[156:157], v[156:157], s[30:31]
	v_fma_f64 v[222:223], v[139:140], s[28:29], v[220:221]
	v_add_f64 v[222:223], v[62:63], v[222:223]
	v_add_f64 v[222:223], v[226:227], v[222:223]
	v_mul_f64 v[226:227], v[148:149], s[36:37]
	v_fma_f64 v[228:229], v[150:151], s[10:11], v[226:227]
	v_add_f64 v[188:189], v[228:229], v[188:189]
	v_mul_f64 v[228:229], v[148:149], s[12:13]
	v_mul_f64 v[148:149], v[148:149], s[26:27]
	v_fma_f64 v[230:231], v[150:151], s[16:17], v[228:229]
	v_add_f64 v[222:223], v[230:231], v[222:223]
	v_mul_f64 v[230:231], v[162:163], s[18:19]
	v_fma_f64 v[232:233], v[128:129], s[20:21], v[230:231]
	v_add_f64 v[188:189], v[232:233], v[188:189]
	;; [unrolled: 3-line block ×6, first 2 shown]
	v_mul_f64 v[240:241], v[152:153], s[22:23]
	v_mul_f64 v[152:153], v[152:153], s[38:39]
	v_fma_f64 v[242:243], v[120:121], s[24:25], v[240:241]
	v_add_f64 v[222:223], v[242:243], v[222:223]
	ds_write2_b64 v138, v[188:189], v[222:223] offset0:8 offset1:10
	v_fma_f64 v[188:189], v[139:140], s[34:35], v[156:157]
	v_fma_f64 v[156:157], v[139:140], s[34:35], -v[156:157]
	v_fma_f64 v[222:223], v[160:161], s[10:11], v[158:159]
	v_fma_f64 v[158:159], v[160:161], s[10:11], -v[158:159]
	v_add_f64 v[188:189], v[62:63], v[188:189]
	v_add_f64 v[156:157], v[62:63], v[156:157]
	;; [unrolled: 1-line block ×4, first 2 shown]
	v_fma_f64 v[158:159], v[150:151], s[28:29], v[148:149]
	v_fma_f64 v[148:149], v[150:151], s[28:29], -v[148:149]
	v_add_f64 v[158:159], v[158:159], v[188:189]
	v_add_f64 v[148:149], v[148:149], v[156:157]
	v_mul_f64 v[156:157], v[162:163], s[42:43]
	v_fma_f64 v[162:163], v[128:129], s[16:17], v[156:157]
	v_fma_f64 v[156:157], v[128:129], s[16:17], -v[156:157]
	v_add_f64 v[158:159], v[162:163], v[158:159]
	v_add_f64 v[148:149], v[156:157], v[148:149]
	v_mul_f64 v[156:157], v[164:165], s[22:23]
	v_fma_f64 v[162:163], v[124:125], s[24:25], v[156:157]
	v_fma_f64 v[156:157], v[124:125], s[24:25], -v[156:157]
	v_add_f64 v[158:159], v[162:163], v[158:159]
	v_add_f64 v[148:149], v[156:157], v[148:149]
	v_fma_f64 v[156:157], v[120:121], s[20:21], v[152:153]
	v_fma_f64 v[152:153], v[120:121], s[20:21], -v[152:153]
	v_fma_f64 v[162:163], v[160:161], s[34:35], -v[172:173]
	v_add_f64 v[156:157], v[156:157], v[158:159]
	v_add_f64 v[148:149], v[152:153], v[148:149]
	v_fma_f64 v[152:153], v[160:161], s[28:29], -v[190:191]
	v_fma_f64 v[158:159], v[160:161], s[24:25], -v[168:169]
	ds_write2_b64 v138, v[156:157], v[148:149] offset0:12 offset1:14
	v_fma_f64 v[148:149], v[139:140], s[24:25], -v[184:185]
	v_fma_f64 v[156:157], v[160:161], s[20:21], -v[224:225]
	v_add_f64 v[148:149], v[62:63], v[148:149]
	v_add_f64 v[148:149], v[152:153], v[148:149]
	v_fma_f64 v[152:153], v[139:140], s[28:29], -v[220:221]
	v_add_f64 v[152:153], v[62:63], v[152:153]
	v_add_f64 v[152:153], v[156:157], v[152:153]
	v_fma_f64 v[156:157], v[150:151], s[10:11], -v[226:227]
	v_add_f64 v[148:149], v[156:157], v[148:149]
	v_fma_f64 v[156:157], v[150:151], s[16:17], -v[228:229]
	v_add_f64 v[152:153], v[156:157], v[152:153]
	v_fma_f64 v[156:157], v[128:129], s[20:21], -v[230:231]
	v_add_f64 v[148:149], v[156:157], v[148:149]
	v_fma_f64 v[156:157], v[128:129], s[34:35], -v[232:233]
	v_add_f64 v[152:153], v[156:157], v[152:153]
	v_fma_f64 v[156:157], v[124:125], s[34:35], -v[234:235]
	v_add_f64 v[148:149], v[156:157], v[148:149]
	v_fma_f64 v[156:157], v[139:140], s[16:17], -v[166:167]
	v_add_f64 v[156:157], v[62:63], v[156:157]
	v_add_f64 v[156:157], v[158:159], v[156:157]
	v_fma_f64 v[158:159], v[139:140], s[20:21], -v[170:171]
	v_fma_f64 v[139:140], v[128:129], s[28:29], -v[178:179]
	v_add_f64 v[158:159], v[62:63], v[158:159]
	v_add_f64 v[62:63], v[62:63], v[136:137]
	v_fma_f64 v[136:137], v[160:161], s[16:17], -v[141:142]
	v_fma_f64 v[141:142], v[128:129], s[10:11], -v[180:181]
	v_add_f64 v[158:159], v[162:163], v[158:159]
	v_fma_f64 v[162:163], v[150:151], s[34:35], -v[174:175]
	v_add_f64 v[62:63], v[136:137], v[62:63]
	v_add_f64 v[136:137], v[104:105], v[70:71]
	;; [unrolled: 1-line block ×3, first 2 shown]
	v_fma_f64 v[162:163], v[150:151], s[24:25], -v[176:177]
	v_mul_f64 v[150:151], v[136:137], s[16:17]
	v_add_f64 v[62:63], v[116:117], v[62:63]
	v_mul_f64 v[92:93], v[136:137], s[24:25]
	v_add_f64 v[139:140], v[139:140], v[156:157]
	v_add_f64 v[158:159], v[162:163], v[158:159]
	v_fma_f64 v[104:105], v[110:111], s[42:43], v[150:151]
	v_fma_f64 v[156:157], v[124:125], s[16:17], -v[186:187]
	v_add_f64 v[139:140], v[154:155], v[139:140]
	v_add_f64 v[141:142], v[141:142], v[158:159]
	;; [unrolled: 1-line block ×3, first 2 shown]
	v_add_f64 v[104:105], v[106:107], -v[108:109]
	v_add_f64 v[106:107], v[114:115], v[98:99]
	v_add_f64 v[98:99], v[98:99], v[80:81]
	v_fma_f64 v[108:109], v[128:129], s[24:25], -v[130:131]
	v_fma_f64 v[128:129], v[124:125], s[10:11], -v[236:237]
	;; [unrolled: 1-line block ×3, first 2 shown]
	v_add_f64 v[141:142], v[156:157], v[141:142]
	v_add_f64 v[106:107], v[106:107], v[94:95]
	v_mul_f64 v[114:115], v[98:99], s[20:21]
	v_add_f64 v[94:95], v[94:95], v[100:101]
	v_add_f64 v[62:63], v[108:109], v[62:63]
	v_mul_f64 v[108:109], v[136:137], s[34:35]
	v_add_f64 v[130:131], v[130:131], v[148:149]
	v_mul_f64 v[154:155], v[98:99], s[34:35]
	v_mul_f64 v[158:159], v[98:99], s[24:25]
	v_add_f64 v[106:107], v[106:107], v[90:91]
	v_fma_f64 v[88:89], v[104:105], s[38:39], v[114:115]
	v_mul_f64 v[116:117], v[94:95], s[24:25]
	v_mul_f64 v[160:161], v[94:95], s[34:35]
	v_fma_f64 v[156:157], v[110:111], s[40:41], v[108:109]
	v_add_f64 v[106:107], v[106:107], v[82:83]
	v_add_f64 v[88:89], v[88:89], v[112:113]
	v_fma_f64 v[112:113], v[124:125], s[28:29], -v[126:127]
	v_mul_f64 v[124:125], v[136:137], s[20:21]
	v_add_f64 v[126:127], v[128:129], v[152:153]
	v_fma_f64 v[128:129], v[120:121], s[24:25], -v[240:241]
	v_fma_f64 v[152:153], v[110:111], s[44:45], v[92:93]
	v_add_f64 v[78:79], v[156:157], v[78:79]
	v_fma_f64 v[92:93], v[110:111], s[22:23], v[92:93]
	v_add_f64 v[106:107], v[106:107], v[84:85]
	v_add_f64 v[84:85], v[82:83], v[84:85]
	v_mul_f64 v[82:83], v[136:137], s[28:29]
	v_add_f64 v[62:63], v[112:113], v[62:63]
	v_fma_f64 v[112:113], v[120:121], s[34:35], -v[122:123]
	v_mul_f64 v[120:121], v[98:99], s[10:11]
	v_add_f64 v[122:123], v[128:129], v[126:127]
	v_mul_f64 v[126:127], v[98:99], s[16:17]
	v_add_f64 v[76:77], v[152:153], v[76:77]
	;; [unrolled: 2-line block ×3, first 2 shown]
	v_add_f64 v[132:133], v[134:135], v[141:142]
	v_fma_f64 v[134:135], v[104:105], s[22:23], v[158:159]
	v_mul_f64 v[139:140], v[94:95], s[28:29]
	v_mul_f64 v[141:142], v[94:95], s[10:11]
	ds_write2_b64 v138, v[122:123], v[130:131] offset0:16 offset1:18
	ds_write2_b64 v138, v[132:133], v[128:129] offset0:20 offset1:22
	v_add_f64 v[106:107], v[106:107], v[96:97]
	v_add_f64 v[96:97], v[90:91], v[96:97]
	;; [unrolled: 1-line block ×3, first 2 shown]
	v_fma_f64 v[156:157], v[104:105], s[42:43], v[126:127]
	v_add_f64 v[78:79], v[134:135], v[78:79]
	v_fma_f64 v[122:123], v[102:103], s[26:27], v[139:140]
	v_fma_f64 v[128:129], v[102:103], s[6:7], v[141:142]
	v_mul_f64 v[162:163], v[84:85], s[16:17]
	v_add_f64 v[16:17], v[92:93], v[16:17]
	v_mul_f64 v[92:93], v[84:85], s[24:25]
	v_add_f64 v[100:101], v[106:107], v[100:101]
	v_fma_f64 v[106:107], v[102:103], s[44:45], v[116:117]
	v_mul_f64 v[90:91], v[96:97], s[28:29]
	ds_write_b64 v138, v[112:113] offset:192
	v_mul_f64 v[112:113], v[96:97], s[34:35]
	v_mul_f64 v[130:131], v[96:97], s[20:21]
	v_mul_f64 v[132:133], v[96:97], s[16:17]
	v_mul_f64 v[134:135], v[96:97], s[10:11]
	v_add_f64 v[78:79], v[128:129], v[78:79]
	v_fma_f64 v[116:117], v[102:103], s[22:23], v[116:117]
	s_waitcnt lgkmcnt(0)
	s_barrier
	buffer_gl0_inv
	v_add_f64 v[100:101], v[100:101], v[80:81]
	v_add_f64 v[106:107], v[106:107], v[88:89]
	v_fma_f64 v[148:149], v[86:87], s[46:47], v[90:91]
	v_add_f64 v[80:81], v[68:69], -v[66:67]
	v_fma_f64 v[66:67], v[110:111], s[26:27], v[82:83]
	v_fma_f64 v[68:69], v[110:111], s[18:19], v[124:125]
	v_mul_f64 v[88:89], v[84:85], s[34:35]
	v_fma_f64 v[82:83], v[110:111], s[46:47], v[82:83]
	v_fma_f64 v[128:129], v[86:87], s[42:43], v[132:133]
	v_add_f64 v[70:71], v[100:101], v[70:71]
	v_add_f64 v[100:101], v[148:149], v[106:107]
	v_fma_f64 v[106:107], v[104:105], s[40:41], v[154:155]
	v_add_f64 v[72:73], v[66:67], v[72:73]
	v_add_f64 v[68:69], v[68:69], v[74:75]
	v_fma_f64 v[74:75], v[104:105], s[6:7], v[120:121]
	v_fma_f64 v[148:149], v[80:81], s[40:41], v[88:89]
	v_add_f64 v[26:27], v[82:83], v[26:27]
	v_add_f64 v[78:79], v[128:129], v[78:79]
	v_fma_f64 v[128:129], v[102:103], s[18:19], v[152:153]
	v_add_f64 v[62:63], v[70:71], v[24:25]
	v_fma_f64 v[70:71], v[102:103], s[38:39], v[152:153]
	v_add_f64 v[76:77], v[106:107], v[76:77]
	v_mul_f64 v[106:107], v[136:137], s[10:11]
	v_add_f64 v[68:69], v[156:157], v[68:69]
	v_add_f64 v[24:25], v[74:75], v[72:73]
	v_fma_f64 v[72:73], v[102:103], s[30:31], v[160:161]
	v_fma_f64 v[74:75], v[110:111], s[12:13], v[150:151]
	v_add_f64 v[156:157], v[118:119], v[12:13]
	v_add_f64 v[66:67], v[148:149], v[100:101]
	v_fma_f64 v[100:101], v[110:111], s[30:31], v[108:109]
	v_fma_f64 v[108:109], v[110:111], s[38:39], v[124:125]
	v_mul_f64 v[136:137], v[98:99], s[28:29]
	v_mul_f64 v[148:149], v[84:85], s[10:11]
	;; [unrolled: 1-line block ×3, first 2 shown]
	v_add_f64 v[12:13], v[12:13], v[36:37]
	v_add_f64 v[76:77], v[122:123], v[76:77]
	v_fma_f64 v[124:125], v[110:111], s[6:7], v[106:107]
	v_fma_f64 v[122:123], v[86:87], s[18:19], v[130:131]
	v_add_f64 v[24:25], v[70:71], v[24:25]
	v_add_f64 v[68:69], v[72:73], v[68:69]
	v_fma_f64 v[72:73], v[110:111], s[36:37], v[106:107]
	v_fma_f64 v[106:107], v[86:87], s[30:31], v[112:113]
	v_add_f64 v[14:15], v[74:75], v[14:15]
	v_fma_f64 v[74:75], v[104:105], s[18:19], v[114:115]
	v_fma_f64 v[114:115], v[104:105], s[36:37], v[120:121]
	;; [unrolled: 1-line block ×3, first 2 shown]
	v_add_f64 v[126:127], v[156:157], v[60:61]
	v_fma_f64 v[110:111], v[86:87], s[6:7], v[134:135]
	v_add_f64 v[18:19], v[100:101], v[18:19]
	v_add_f64 v[52:53], v[108:109], v[52:53]
	v_fma_f64 v[108:109], v[104:105], s[44:45], v[158:159]
	v_fma_f64 v[100:101], v[104:105], s[30:31], v[154:155]
	v_mul_f64 v[10:11], v[12:13], s[10:11]
	v_add_f64 v[60:61], v[60:61], v[32:33]
	v_mul_f64 v[152:153], v[12:13], s[20:21]
	v_fma_f64 v[112:113], v[86:87], s[40:41], v[112:113]
	ds_read_b64 v[70:71], v194
	ds_read_b64 v[98:99], v218
	;; [unrolled: 1-line block ×3, first 2 shown]
	v_add_f64 v[64:65], v[124:125], v[64:65]
	v_fma_f64 v[124:125], v[104:105], s[46:47], v[136:137]
	v_add_f64 v[76:77], v[122:123], v[76:77]
	v_fma_f64 v[122:123], v[80:81], s[46:47], v[150:151]
	v_add_f64 v[0:1], v[72:73], v[0:1]
	v_mul_f64 v[72:73], v[94:95], s[16:17]
	v_fma_f64 v[94:95], v[104:105], s[26:27], v[136:137]
	v_add_f64 v[24:25], v[106:107], v[24:25]
	v_fma_f64 v[106:107], v[80:81], s[12:13], v[162:163]
	v_fma_f64 v[104:105], v[80:81], s[6:7], v[148:149]
	v_add_f64 v[126:127], v[126:127], v[56:57]
	v_add_f64 v[68:69], v[110:111], v[68:69]
	v_fma_f64 v[110:111], v[80:81], s[44:45], v[92:93]
	v_add_f64 v[14:15], v[74:75], v[14:15]
	v_add_f64 v[18:19], v[108:109], v[18:19]
	;; [unrolled: 1-line block ×3, first 2 shown]
	v_fma_f64 v[120:121], v[102:103], s[46:47], v[139:140]
	v_add_f64 v[16:17], v[100:101], v[16:17]
	v_add_f64 v[26:27], v[114:115], v[26:27]
	v_fma_f64 v[136:137], v[102:103], s[40:41], v[160:161]
	v_mul_f64 v[58:59], v[60:61], s[16:17]
	v_add_f64 v[56:57], v[56:57], v[20:21]
	v_fma_f64 v[92:93], v[80:81], s[22:23], v[92:93]
	v_add_f64 v[114:115], v[124:125], v[64:65]
	v_fma_f64 v[124:125], v[102:103], s[36:37], v[141:142]
	v_mul_f64 v[141:142], v[12:13], s[16:17]
	v_add_f64 v[64:65], v[122:123], v[78:79]
	v_fma_f64 v[139:140], v[102:103], s[12:13], v[72:73]
	v_add_f64 v[0:1], v[94:95], v[0:1]
	v_fma_f64 v[94:95], v[102:103], s[42:43], v[72:73]
	v_add_f64 v[72:73], v[106:107], v[24:25]
	v_add_f64 v[52:53], v[104:105], v[76:77]
	v_add_f64 v[24:25], v[126:127], v[48:49]
	v_mul_f64 v[76:77], v[12:13], s[24:25]
	v_mul_f64 v[78:79], v[12:13], s[28:29]
	;; [unrolled: 1-line block ×3, first 2 shown]
	v_add_f64 v[74:75], v[110:111], v[68:69]
	v_mul_f64 v[68:69], v[96:97], s[24:25]
	v_add_f64 v[14:15], v[116:117], v[14:15]
	v_add_f64 v[16:17], v[120:121], v[16:17]
	;; [unrolled: 1-line block ×4, first 2 shown]
	v_fma_f64 v[110:111], v[2:3], s[38:39], v[152:153]
	v_fma_f64 v[126:127], v[86:87], s[36:37], v[134:135]
	v_mul_f64 v[134:135], v[60:61], s[20:21]
	v_mul_f64 v[54:55], v[56:57], s[20:21]
	v_add_f64 v[18:19], v[124:125], v[18:19]
	v_fma_f64 v[96:97], v[2:3], s[42:43], v[141:142]
	v_fma_f64 v[108:109], v[2:3], s[12:13], v[141:142]
	v_add_f64 v[106:107], v[139:140], v[114:115]
	v_fma_f64 v[114:115], v[2:3], s[18:19], v[152:153]
	v_add_f64 v[94:95], v[94:95], v[0:1]
	v_fma_f64 v[0:1], v[2:3], s[36:37], v[10:11]
	v_fma_f64 v[10:11], v[2:3], s[6:7], v[10:11]
	v_add_f64 v[24:25], v[24:25], v[46:47]
	v_fma_f64 v[116:117], v[2:3], s[44:45], v[76:77]
	v_fma_f64 v[76:77], v[2:3], s[22:23], v[76:77]
	;; [unrolled: 1-line block ×10, first 2 shown]
	v_mul_f64 v[130:131], v[60:61], s[24:25]
	v_fma_f64 v[86:87], v[86:87], s[22:23], v[68:69]
	v_mul_f64 v[68:69], v[60:61], s[34:35]
	v_fma_f64 v[139:140], v[4:5], s[42:43], v[58:59]
	v_fma_f64 v[58:59], v[4:5], s[12:13], v[58:59]
	v_add_f64 v[96:97], v[118:119], v[96:97]
	v_add_f64 v[108:109], v[118:119], v[108:109]
	;; [unrolled: 1-line block ×5, first 2 shown]
	v_mul_f64 v[0:1], v[60:61], s[28:29]
	v_add_f64 v[10:11], v[118:119], v[10:11]
	v_mul_f64 v[60:61], v[60:61], s[10:11]
	v_add_f64 v[24:25], v[24:25], v[34:35]
	v_add_f64 v[116:117], v[118:119], v[116:117]
	v_add_f64 v[76:77], v[118:119], v[76:77]
	v_add_f64 v[120:121], v[118:119], v[120:121]
	v_add_f64 v[78:79], v[118:119], v[78:79]
	v_add_f64 v[122:123], v[118:119], v[122:123]
	v_add_f64 v[118:119], v[118:119], v[2:3]
	v_fma_f64 v[160:161], v[4:5], s[18:19], v[134:135]
	v_fma_f64 v[164:165], v[4:5], s[38:39], v[134:135]
	;; [unrolled: 1-line block ×6, first 2 shown]
	v_add_f64 v[112:113], v[112:113], v[26:27]
	v_add_f64 v[104:105], v[126:127], v[104:105]
	v_mul_f64 v[26:27], v[56:57], s[34:35]
	v_add_f64 v[106:107], v[128:129], v[106:107]
	v_mul_f64 v[126:127], v[56:57], s[24:25]
	v_mul_f64 v[128:129], v[56:57], s[16:17]
	v_fma_f64 v[156:157], v[4:5], s[26:27], v[0:1]
	v_fma_f64 v[158:159], v[4:5], s[46:47], v[0:1]
	;; [unrolled: 1-line block ×4, first 2 shown]
	v_add_f64 v[24:25], v[24:25], v[38:39]
	v_add_f64 v[10:11], v[58:59], v[10:11]
	v_mul_f64 v[58:59], v[56:57], s[10:11]
	v_mul_f64 v[56:57], v[56:57], s[28:29]
	v_add_f64 v[48:49], v[48:49], v[40:41]
	v_add_f64 v[86:87], v[86:87], v[94:95]
	;; [unrolled: 1-line block ×3, first 2 shown]
	v_fma_f64 v[132:133], v[8:9], s[38:39], v[54:55]
	v_add_f64 v[96:97], v[141:142], v[96:97]
	v_add_f64 v[108:109], v[130:131], v[108:109]
	v_fma_f64 v[54:55], v[8:9], s[18:19], v[54:55]
	v_add_f64 v[110:111], v[152:153], v[110:111]
	v_add_f64 v[114:115], v[154:155], v[114:115]
	;; [unrolled: 1-line block ×3, first 2 shown]
	v_fma_f64 v[139:140], v[8:9], s[40:41], v[26:27]
	v_add_f64 v[78:79], v[164:165], v[78:79]
	v_fma_f64 v[141:142], v[8:9], s[30:31], v[26:27]
	v_fma_f64 v[152:153], v[8:9], s[22:23], v[126:127]
	v_add_f64 v[116:117], v[156:157], v[116:117]
	v_add_f64 v[76:77], v[158:159], v[76:77]
	;; [unrolled: 1-line block ×5, first 2 shown]
	v_fma_f64 v[118:119], v[8:9], s[44:45], v[126:127]
	v_fma_f64 v[126:127], v[8:9], s[6:7], v[58:59]
	;; [unrolled: 1-line block ×4, first 2 shown]
	v_mul_f64 v[50:51], v[48:49], s[24:25]
	v_fma_f64 v[58:59], v[8:9], s[36:37], v[58:59]
	v_fma_f64 v[154:155], v[8:9], s[42:43], v[128:129]
	;; [unrolled: 1-line block ×3, first 2 shown]
	v_add_f64 v[94:95], v[132:133], v[94:95]
	v_mul_f64 v[132:133], v[48:49], s[10:11]
	v_add_f64 v[54:55], v[54:55], v[10:11]
	v_mul_f64 v[158:159], v[48:49], s[20:21]
	v_add_f64 v[46:47], v[46:47], v[22:23]
	v_add_f64 v[96:97], v[139:140], v[96:97]
	v_mul_f64 v[139:140], v[48:49], s[34:35]
	v_add_f64 v[108:109], v[141:142], v[108:109]
	;; [unrolled: 3-line block ×3, first 2 shown]
	v_add_f64 v[60:61], v[12:13], v[14:15]
	v_add_f64 v[90:91], v[90:91], v[16:17]
	;; [unrolled: 1-line block ×3, first 2 shown]
	v_mul_f64 v[130:131], v[48:49], s[28:29]
	v_mul_f64 v[48:49], v[48:49], s[16:17]
	v_add_f64 v[114:115], v[118:119], v[114:115]
	v_add_f64 v[56:57], v[56:57], v[4:5]
	v_fma_f64 v[4:5], v[44:45], s[44:45], v[50:51]
	v_fma_f64 v[50:51], v[44:45], s[22:23], v[50:51]
	v_add_f64 v[116:117], v[126:127], v[116:117]
	v_add_f64 v[58:59], v[58:59], v[76:77]
	;; [unrolled: 1-line block ×5, first 2 shown]
	v_fma_f64 v[122:123], v[44:45], s[6:7], v[132:133]
	v_fma_f64 v[126:127], v[44:45], s[36:37], v[132:133]
	;; [unrolled: 1-line block ×5, first 2 shown]
	v_mul_f64 v[152:153], v[46:47], s[28:29]
	v_mul_f64 v[156:157], v[46:47], s[20:21]
	;; [unrolled: 1-line block ×3, first 2 shown]
	v_fma_f64 v[154:155], v[80:81], s[18:19], v[22:23]
	v_add_f64 v[124:125], v[124:125], v[18:19]
	v_add_f64 v[40:41], v[40:41], v[20:21]
	v_fma_f64 v[118:119], v[44:45], s[26:27], v[130:131]
	v_fma_f64 v[120:121], v[44:45], s[46:47], v[130:131]
	;; [unrolled: 1-line block ×5, first 2 shown]
	v_add_f64 v[50:51], v[50:51], v[54:55]
	v_mul_f64 v[54:55], v[46:47], s[10:11]
	v_mul_f64 v[158:159], v[46:47], s[16:17]
	;; [unrolled: 1-line block ×3, first 2 shown]
	v_add_f64 v[94:95], v[4:5], v[94:95]
	v_fma_f64 v[48:49], v[80:81], s[30:31], v[88:89]
	v_fma_f64 v[88:89], v[80:81], s[36:37], v[148:149]
	v_fma_f64 v[148:149], v[80:81], s[26:27], v[150:151]
	v_fma_f64 v[150:151], v[80:81], s[42:43], v[162:163]
	v_add_f64 v[76:77], v[132:133], v[76:77]
	v_add_f64 v[78:79], v[139:140], v[78:79]
	v_mul_f64 v[162:163], v[34:35], s[20:21]
	v_fma_f64 v[80:81], v[80:81], s[38:39], v[22:23]
	v_fma_f64 v[132:133], v[42:43], s[40:41], v[160:161]
	v_add_f64 v[92:93], v[92:93], v[104:105]
	v_add_f64 v[104:105], v[154:155], v[106:107]
	;; [unrolled: 1-line block ×8, first 2 shown]
	v_fma_f64 v[116:117], v[42:43], s[46:47], v[152:153]
	v_add_f64 v[84:85], v[141:142], v[84:85]
	v_fma_f64 v[118:119], v[42:43], s[26:27], v[152:153]
	v_fma_f64 v[120:121], v[42:43], s[18:19], v[156:157]
	;; [unrolled: 1-line block ×5, first 2 shown]
	v_add_f64 v[141:142], v[28:29], -v[30:31]
	v_mul_f64 v[152:153], v[34:35], s[34:35]
	v_mul_f64 v[156:157], v[34:35], s[10:11]
	v_fma_f64 v[126:127], v[42:43], s[42:43], v[158:159]
	v_add_f64 v[44:45], v[44:45], v[56:57]
	v_mul_f64 v[56:57], v[34:35], s[28:29]
	v_add_f64 v[58:59], v[130:131], v[58:59]
	v_fma_f64 v[128:129], v[42:43], s[12:13], v[158:159]
	v_fma_f64 v[130:131], v[42:43], s[30:31], v[160:161]
	;; [unrolled: 1-line block ×3, first 2 shown]
	v_mul_f64 v[160:161], v[34:35], s[16:17]
	v_fma_f64 v[42:43], v[42:43], s[22:23], v[46:47]
	v_mul_f64 v[46:47], v[34:35], s[24:25]
	v_add_f64 v[80:81], v[80:81], v[86:87]
	v_add_f64 v[36:37], v[40:41], v[36:37]
	;; [unrolled: 1-line block ×10, first 2 shown]
	v_fma_f64 v[78:79], v[141:142], s[40:41], v[152:153]
	v_fma_f64 v[116:117], v[141:142], s[6:7], v[156:157]
	v_add_f64 v[108:109], v[126:127], v[108:109]
	v_fma_f64 v[118:119], v[141:142], s[36:37], v[156:157]
	v_fma_f64 v[120:121], v[141:142], s[46:47], v[56:57]
	v_add_f64 v[58:59], v[132:133], v[58:59]
	v_add_f64 v[110:111], v[128:129], v[110:111]
	;; [unrolled: 1-line block ×3, first 2 shown]
	v_fma_f64 v[132:133], v[141:142], s[30:31], v[152:153]
	v_fma_f64 v[122:123], v[141:142], s[12:13], v[160:161]
	v_add_f64 v[84:85], v[158:159], v[84:85]
	v_fma_f64 v[128:129], v[141:142], s[44:45], v[46:47]
	v_fma_f64 v[130:131], v[141:142], s[18:19], v[162:163]
	v_add_f64 v[42:43], v[42:43], v[44:45]
	v_fma_f64 v[44:45], v[141:142], s[38:39], v[162:163]
	v_fma_f64 v[126:127], v[141:142], s[42:43], v[160:161]
	;; [unrolled: 1-line block ×4, first 2 shown]
	v_add_f64 v[90:91], v[150:151], v[112:113]
	v_add_f64 v[88:89], v[148:149], v[124:125]
	ds_read_b64 v[100:101], v216
	ds_read_b64 v[102:103], v215
	;; [unrolled: 1-line block ×3, first 2 shown]
	ds_read_b64 v[136:137], v206 offset:10400
	v_add_f64 v[40:41], v[78:79], v[94:95]
	v_add_f64 v[78:79], v[116:117], v[96:97]
	v_and_b32_e32 v96, 0xff, v199
	v_add_f64 v[86:87], v[120:121], v[108:109]
	v_add_f64 v[38:39], v[118:119], v[38:39]
	ds_read_b64 v[68:69], v193
	v_add_f64 v[50:51], v[132:133], v[50:51]
	v_mul_lo_u16 v96, 0x4f, v96
	v_add_f64 v[94:95], v[122:123], v[114:115]
	v_add_f64 v[76:77], v[128:129], v[76:77]
	;; [unrolled: 1-line block ×3, first 2 shown]
	ds_read2_b64 v[0:3], v206 offset1:156
	v_lshrrev_b16 v150, 11, v96
	v_add_f64 v[42:43], v[44:45], v[42:43]
	v_add_f64 v[58:59], v[126:127], v[58:59]
	;; [unrolled: 1-line block ×4, first 2 shown]
	v_mul_lo_u16 v54, v150, 26
	ds_read2_b64 v[16:19], v209 offset0:164 offset1:216
	ds_read2_b64 v[12:15], v210 offset0:12 offset1:64
	;; [unrolled: 1-line block ×8, first 2 shown]
	s_waitcnt lgkmcnt(0)
	s_barrier
	buffer_gl0_inv
	ds_write2_b64 v214, v[62:63], v[66:67] offset1:2
	ds_write2_b64 v214, v[52:53], v[64:65] offset0:4 offset1:6
	ds_write2_b64 v214, v[72:73], v[74:75] offset0:8 offset1:10
	;; [unrolled: 1-line block ×4, first 2 shown]
	v_sub_nc_u16 v156, v199, v54
	v_mov_b32_e32 v52, 12
	ds_write2_b64 v214, v[88:89], v[60:61] offset0:20 offset1:22
	ds_write_b64 v214, v[48:49] offset:192
	ds_write2_b64 v138, v[36:37], v[40:41] offset1:2
	ds_write2_b64 v138, v[78:79], v[86:87] offset0:4 offset1:6
	ds_write2_b64 v138, v[94:95], v[76:77] offset0:8 offset1:10
	;; [unrolled: 1-line block ×5, first 2 shown]
	ds_write_b64 v138, v[50:51] offset:192
	v_mul_u32_u24_sdwa v36, v156, v52 dst_sel:DWORD dst_unused:UNUSED_PAD src0_sel:BYTE_0 src1_sel:DWORD
	s_waitcnt lgkmcnt(0)
	s_barrier
	buffer_gl0_inv
	v_subrev_nc_u32_e32 v214, 26, v198
	v_lshlrev_b32_e32 v96, 4, v36
	s_clause 0x3
	global_load_dwordx4 v[36:39], v96, s[8:9] offset:400
	global_load_dwordx4 v[40:43], v96, s[8:9] offset:416
	;; [unrolled: 1-line block ×4, first 2 shown]
	v_cndmask_b32_e64 v151, v214, v198, s0
	v_mov_b32_e32 v53, 0
	v_mul_i32_i24_e32 v52, 12, v151
	v_lshlrev_b32_e32 v151, 3, v151
	v_lshlrev_b64 v[52:53], 4, v[52:53]
	v_add_co_u32 v66, s1, s8, v52
	v_add_co_ci_u32_e64 v67, s1, s9, v53, s1
	s_clause 0xb
	global_load_dwordx4 v[74:77], v[66:67], off offset:480
	global_load_dwordx4 v[78:81], v96, s[8:9] offset:464
	global_load_dwordx4 v[84:87], v[66:67], off offset:496
	global_load_dwordx4 v[88:91], v96, s[8:9] offset:480
	;; [unrolled: 2-line block ×3, first 2 shown]
	global_load_dwordx4 v[116:119], v[66:67], off offset:528
	global_load_dwordx4 v[120:123], v[66:67], off offset:384
	;; [unrolled: 1-line block ×3, first 2 shown]
	global_load_dwordx4 v[130:133], v96, s[8:9] offset:512
	global_load_dwordx4 v[138:141], v[66:67], off offset:400
	global_load_dwordx4 v[152:155], v[66:67], off offset:544
	ds_read2_b64 v[52:55], v212 offset0:4 offset1:108
	s_clause 0x5
	global_load_dwordx4 v[157:160], v[66:67], off offset:416
	global_load_dwordx4 v[161:164], v96, s[8:9] offset:528
	global_load_dwordx4 v[165:168], v96, s[8:9] offset:544
	;; [unrolled: 1-line block ×3, first 2 shown]
	global_load_dwordx4 v[169:172], v[66:67], off offset:432
	global_load_dwordx4 v[177:180], v96, s[8:9] offset:560
	ds_read2_b64 v[56:59], v219 offset0:84 offset1:188
	v_cmp_lt_u32_e64 s1, 25, v198
	global_load_dwordx4 v[173:176], v[66:67], off offset:464
	s_waitcnt vmcnt(22) lgkmcnt(1)
	v_mul_f64 v[60:61], v[52:53], v[38:39]
	s_waitcnt vmcnt(21)
	v_mul_f64 v[64:65], v[54:55], v[42:43]
	v_mul_f64 v[38:39], v[32:33], v[38:39]
	;; [unrolled: 1-line block ×3, first 2 shown]
	v_fma_f64 v[72:73], v[32:33], v[36:37], v[60:61]
	v_fma_f64 v[64:65], v[34:35], v[40:41], v[64:65]
	global_load_dwordx4 v[32:35], v[66:67], off offset:448
	v_fma_f64 v[62:63], v[52:53], v[36:37], -v[38:39]
	s_waitcnt vmcnt(21) lgkmcnt(0)
	v_mul_f64 v[36:37], v[56:57], v[46:47]
	v_mul_f64 v[38:39], v[28:29], v[46:47]
	v_fma_f64 v[60:61], v[54:55], v[40:41], -v[42:43]
	v_fma_f64 v[52:53], v[28:29], v[44:45], v[36:37]
	s_waitcnt vmcnt(20)
	v_mul_f64 v[28:29], v[58:59], v[50:51]
	v_fma_f64 v[56:57], v[56:57], v[44:45], -v[38:39]
	s_waitcnt vmcnt(19)
	v_mul_f64 v[38:39], v[18:19], v[76:77]
	v_fma_f64 v[44:45], v[30:31], v[48:49], v[28:29]
	v_mul_f64 v[28:29], v[30:31], v[50:51]
	v_fma_f64 v[48:49], v[58:59], v[48:49], -v[28:29]
	ds_read2_b64 v[28:31], v209 offset0:164 offset1:216
	s_waitcnt lgkmcnt(0)
	v_mul_f64 v[36:37], v[30:31], v[76:77]
	s_waitcnt vmcnt(18)
	v_mul_f64 v[40:41], v[28:29], v[80:81]
	v_fma_f64 v[76:77], v[30:31], v[74:75], -v[38:39]
	v_mul_f64 v[30:31], v[16:17], v[80:81]
	v_fma_f64 v[108:109], v[18:19], v[74:75], v[36:37]
	v_fma_f64 v[40:41], v[16:17], v[78:79], v[40:41]
	ds_read2_b64 v[16:19], v210 offset0:12 offset1:64
	v_fma_f64 v[46:47], v[28:29], v[78:79], -v[30:31]
	s_waitcnt vmcnt(17)
	v_mul_f64 v[30:31], v[14:15], v[86:87]
	s_waitcnt lgkmcnt(0)
	v_mul_f64 v[28:29], v[18:19], v[86:87]
	s_waitcnt vmcnt(16)
	v_mul_f64 v[36:37], v[16:17], v[90:91]
	v_fma_f64 v[78:79], v[18:19], v[84:85], -v[30:31]
	v_fma_f64 v[110:111], v[14:15], v[84:85], v[28:29]
	ds_read2_b64 v[28:31], v210 offset0:116 offset1:168
	v_mul_f64 v[14:15], v[12:13], v[90:91]
	v_fma_f64 v[42:43], v[12:13], v[88:89], v[36:37]
	s_waitcnt vmcnt(15)
	v_mul_f64 v[36:37], v[26:27], v[94:95]
	s_waitcnt lgkmcnt(0)
	v_mul_f64 v[18:19], v[30:31], v[94:95]
	s_waitcnt vmcnt(14)
	v_mul_f64 v[38:39], v[28:29], v[106:107]
	v_fma_f64 v[50:51], v[16:17], v[88:89], -v[14:15]
	ds_read2_b64 v[12:15], v213 offset0:92 offset1:144
	ds_read_b64 v[74:75], v193
	v_mul_f64 v[16:17], v[24:25], v[106:107]
	v_fma_f64 v[80:81], v[30:31], v[92:93], -v[36:37]
	s_waitcnt vmcnt(11)
	v_mul_f64 v[30:31], v[6:7], v[126:127]
	v_mul_f64 v[36:37], v[68:69], v[122:123]
	v_fma_f64 v[112:113], v[26:27], v[92:93], v[18:19]
	v_fma_f64 v[58:59], v[24:25], v[104:105], v[38:39]
	s_waitcnt lgkmcnt(1)
	v_mul_f64 v[24:25], v[14:15], v[118:119]
	v_mul_f64 v[26:27], v[10:11], v[118:119]
	s_waitcnt vmcnt(10)
	v_mul_f64 v[38:39], v[12:13], v[132:133]
	v_fma_f64 v[66:67], v[28:29], v[104:105], -v[16:17]
	s_waitcnt lgkmcnt(0)
	v_mul_f64 v[28:29], v[74:75], v[122:123]
	ds_read2_b64 v[16:19], v208 offset0:172 offset1:224
	v_fma_f64 v[122:123], v[74:75], v[120:121], -v[36:37]
	v_fma_f64 v[114:115], v[10:11], v[116:117], v[24:25]
	v_fma_f64 v[86:87], v[14:15], v[116:117], -v[26:27]
	ds_read2_b64 v[24:27], v208 offset0:68 offset1:120
	s_waitcnt lgkmcnt(1)
	v_mul_f64 v[10:11], v[18:19], v[126:127]
	v_fma_f64 v[128:129], v[68:69], v[120:121], v[28:29]
	v_fma_f64 v[54:55], v[18:19], v[124:125], -v[30:31]
	s_waitcnt vmcnt(9)
	v_mul_f64 v[18:19], v[70:71], v[140:141]
	s_waitcnt vmcnt(8)
	v_mul_f64 v[28:29], v[22:23], v[154:155]
	v_fma_f64 v[68:69], v[8:9], v[130:131], v[38:39]
	v_mul_f64 v[8:9], v[8:9], v[132:133]
	ds_read_b64 v[14:15], v194
	ds_read2_b64 v[36:39], v206 offset1:156
	s_waitcnt lgkmcnt(2)
	v_mul_f64 v[30:31], v[26:27], v[154:155]
	v_fma_f64 v[132:133], v[6:7], v[124:125], v[10:11]
	v_add_f64 v[10:11], v[122:123], -v[54:55]
	v_fma_f64 v[84:85], v[26:27], v[152:153], -v[28:29]
	ds_read_b64 v[26:27], v217
	v_fma_f64 v[74:75], v[12:13], v[130:131], -v[8:9]
	s_waitcnt vmcnt(6)
	v_mul_f64 v[8:9], v[24:25], v[163:164]
	v_mul_f64 v[12:13], v[20:21], v[163:164]
	s_waitcnt vmcnt(5)
	v_mul_f64 v[28:29], v[4:5], v[167:168]
	s_waitcnt vmcnt(4) lgkmcnt(1)
	v_mul_f64 v[142:143], v[38:39], v[183:184]
	v_fma_f64 v[120:121], v[22:23], v[152:153], v[30:31]
	ds_read_b64 v[30:31], v216
	v_mul_f64 v[6:7], v[14:15], v[140:141]
	v_fma_f64 v[92:93], v[14:15], v[138:139], -v[18:19]
	v_mul_f64 v[14:15], v[98:99], v[159:160]
	ds_read_b64 v[18:19], v218
	v_mul_f64 v[22:23], v[16:17], v[167:168]
	v_add_f64 v[140:141], v[128:129], v[132:133]
	v_fma_f64 v[90:91], v[20:21], v[161:162], v[8:9]
	s_waitcnt vmcnt(3)
	v_mul_f64 v[8:9], v[82:83], v[171:172]
	v_fma_f64 v[88:89], v[16:17], v[165:166], -v[28:29]
	v_fma_f64 v[124:125], v[70:71], v[138:139], v[6:7]
	v_mul_f64 v[138:139], v[10:11], s[6:7]
	s_waitcnt lgkmcnt(0)
	v_fma_f64 v[94:95], v[18:19], v[157:158], -v[14:15]
	v_add_f64 v[14:15], v[92:93], -v[84:85]
	v_mul_f64 v[18:19], v[18:19], v[159:160]
	ds_read_b64 v[6:7], v215
	v_fma_f64 v[70:71], v[24:25], v[161:162], -v[12:13]
	ds_read_b64 v[12:13], v206 offset:10400
	v_mul_f64 v[20:21], v[26:27], v[171:172]
	v_fma_f64 v[96:97], v[4:5], v[165:166], v[22:23]
	v_fma_f64 v[104:105], v[26:27], v[169:170], -v[8:9]
	s_waitcnt vmcnt(2)
	v_mul_f64 v[26:27], v[136:137], v[179:180]
	v_add_f64 v[161:162], v[0:1], v[128:129]
	v_add_f64 v[28:29], v[124:125], v[120:121]
	v_fma_f64 v[16:17], v[140:141], s[10:11], v[138:139]
	s_waitcnt vmcnt(1) lgkmcnt(1)
	v_mul_f64 v[22:23], v[6:7], v[175:176]
	v_fma_f64 v[130:131], v[98:99], v[157:158], v[18:19]
	v_add_f64 v[18:19], v[94:95], -v[86:87]
	s_waitcnt vmcnt(0)
	v_mul_f64 v[24:25], v[30:31], v[34:35]
	v_mul_f64 v[4:5], v[100:101], v[34:35]
	;; [unrolled: 1-line block ×4, first 2 shown]
	s_waitcnt lgkmcnt(0)
	v_mul_f64 v[8:9], v[12:13], v[179:180]
	v_fma_f64 v[126:127], v[82:83], v[169:170], v[20:21]
	v_mul_f64 v[20:21], v[10:11], s[12:13]
	v_add_f64 v[152:153], v[104:105], -v[80:81]
	v_fma_f64 v[82:83], v[12:13], v[177:178], -v[26:27]
	v_mul_f64 v[165:166], v[14:15], s[22:23]
	v_mul_f64 v[167:168], v[14:15], s[30:31]
	;; [unrolled: 1-line block ×4, first 2 shown]
	v_add_f64 v[16:17], v[0:1], v[16:17]
	v_fma_f64 v[116:117], v[102:103], v[173:174], v[22:23]
	v_mul_f64 v[22:23], v[10:11], s[26:27]
	v_mul_f64 v[148:149], v[18:19], s[18:19]
	v_fma_f64 v[118:119], v[100:101], v[32:33], v[24:25]
	v_mul_f64 v[24:25], v[10:11], s[18:19]
	v_fma_f64 v[106:107], v[30:31], v[32:33], -v[4:5]
	v_mul_f64 v[4:5], v[10:11], s[22:23]
	v_mul_f64 v[10:11], v[10:11], s[30:31]
	v_fma_f64 v[30:31], v[28:29], s[16:17], v[34:35]
	v_add_f64 v[32:33], v[130:131], v[114:115]
	v_fma_f64 v[98:99], v[6:7], v[173:174], -v[98:99]
	v_mul_f64 v[6:7], v[2:3], v[183:184]
	v_fma_f64 v[100:101], v[136:137], v[177:178], v[8:9]
	v_fma_f64 v[102:103], v[2:3], v[181:182], v[142:143]
	v_fma_f64 v[2:3], v[140:141], s[10:11], -v[138:139]
	v_fma_f64 v[8:9], v[140:141], s[16:17], v[20:21]
	v_fma_f64 v[12:13], v[140:141], s[16:17], -v[20:21]
	v_mul_f64 v[142:143], v[152:153], s[22:23]
	v_mul_f64 v[169:170], v[18:19], s[30:31]
	;; [unrolled: 1-line block ×6, first 2 shown]
	v_fma_f64 v[136:137], v[140:141], s[28:29], v[22:23]
	v_fma_f64 v[22:23], v[140:141], s[28:29], -v[22:23]
	v_mul_f64 v[215:216], v[18:19], s[12:13]
	v_fma_f64 v[20:21], v[140:141], s[20:21], v[24:25]
	v_fma_f64 v[24:25], v[140:141], s[20:21], -v[24:25]
	v_fma_f64 v[26:27], v[140:141], s[24:25], v[4:5]
	v_fma_f64 v[4:5], v[140:141], s[24:25], -v[4:5]
	;; [unrolled: 2-line block ×3, first 2 shown]
	v_add_f64 v[16:17], v[30:31], v[16:17]
	v_fma_f64 v[30:31], v[32:33], s[20:21], v[148:149]
	v_add_f64 v[140:141], v[126:127], v[112:113]
	v_add_f64 v[154:155], v[106:107], -v[78:79]
	v_fma_f64 v[38:39], v[38:39], v[181:182], -v[6:7]
	v_add_f64 v[157:158], v[0:1], v[2:3]
	v_add_f64 v[2:3], v[0:1], v[8:9]
	;; [unrolled: 1-line block ×3, first 2 shown]
	v_mul_f64 v[217:218], v[152:153], s[18:19]
	v_mul_f64 v[219:220], v[152:153], s[40:41]
	v_add_f64 v[12:13], v[0:1], v[136:137]
	v_add_f64 v[22:23], v[0:1], v[22:23]
	;; [unrolled: 1-line block ×10, first 2 shown]
	v_fma_f64 v[4:5], v[140:141], s[24:25], v[142:143]
	v_add_f64 v[30:31], v[118:119], v[110:111]
	v_mul_f64 v[136:137], v[154:155], s[26:27]
	v_add_f64 v[16:17], v[98:99], -v[76:77]
	v_mul_f64 v[177:178], v[154:155], s[38:39]
	v_mul_f64 v[179:180], v[154:155], s[12:13]
	;; [unrolled: 1-line block ×4, first 2 shown]
	v_add_f64 v[0:1], v[4:5], v[0:1]
	v_fma_f64 v[4:5], v[30:31], s[28:29], v[136:137]
	v_mul_f64 v[163:164], v[16:17], s[30:31]
	v_mul_f64 v[181:182], v[16:17], s[36:37]
	;; [unrolled: 1-line block ×6, first 2 shown]
	v_add_f64 v[0:1], v[4:5], v[0:1]
	v_fma_f64 v[4:5], v[138:139], s[34:35], v[163:164]
	v_add_f64 v[0:1], v[4:5], v[0:1]
	v_fma_f64 v[4:5], v[28:29], s[24:25], v[165:166]
	;; [unrolled: 2-line block ×21, first 2 shown]
	v_add_f64 v[8:9], v[12:13], v[8:9]
	v_mul_f64 v[12:13], v[14:15], s[36:37]
	v_fma_f64 v[14:15], v[28:29], s[10:11], v[12:13]
	v_fma_f64 v[12:13], v[28:29], s[10:11], -v[12:13]
	v_add_f64 v[14:15], v[14:15], v[26:27]
	v_add_f64 v[10:11], v[12:13], v[10:11]
	v_mul_f64 v[12:13], v[18:19], s[26:27]
	v_fma_f64 v[26:27], v[140:141], s[28:29], -v[173:174]
	v_add_f64 v[173:174], v[46:47], -v[50:51]
	v_fma_f64 v[18:19], v[32:33], s[28:29], v[12:13]
	v_fma_f64 v[12:13], v[32:33], s[28:29], -v[12:13]
	v_add_f64 v[14:15], v[18:19], v[14:15]
	v_add_f64 v[10:11], v[12:13], v[10:11]
	v_mul_f64 v[12:13], v[152:153], s[42:43]
	v_add_f64 v[152:153], v[72:73], v[96:97]
	v_fma_f64 v[18:19], v[140:141], s[16:17], v[12:13]
	v_fma_f64 v[12:13], v[140:141], s[16:17], -v[12:13]
	v_add_f64 v[14:15], v[18:19], v[14:15]
	v_add_f64 v[10:11], v[12:13], v[10:11]
	v_mul_f64 v[12:13], v[154:155], s[22:23]
	v_fma_f64 v[18:19], v[30:31], s[24:25], v[12:13]
	v_fma_f64 v[12:13], v[30:31], s[24:25], -v[12:13]
	v_add_f64 v[14:15], v[18:19], v[14:15]
	v_add_f64 v[12:13], v[12:13], v[10:11]
	v_fma_f64 v[10:11], v[138:139], s[20:21], v[16:17]
	v_fma_f64 v[18:19], v[32:33], s[10:11], -v[189:190]
	v_add_f64 v[10:11], v[10:11], v[14:15]
	v_fma_f64 v[14:15], v[138:139], s[20:21], -v[16:17]
	v_fma_f64 v[16:17], v[28:29], s[20:21], -v[187:188]
	v_add_f64 v[12:13], v[14:15], v[12:13]
	v_fma_f64 v[14:15], v[28:29], s[28:29], -v[185:186]
	v_add_f64 v[16:17], v[16:17], v[22:23]
	v_fma_f64 v[22:23], v[28:29], s[34:35], -v[167:168]
	v_add_f64 v[167:168], v[48:49], -v[66:67]
	v_add_f64 v[14:15], v[14:15], v[24:25]
	v_fma_f64 v[24:25], v[32:33], s[24:25], -v[171:172]
	v_add_f64 v[20:21], v[22:23], v[20:21]
	v_fma_f64 v[22:23], v[32:33], s[34:35], -v[169:170]
	v_add_f64 v[169:170], v[44:45], v[58:59]
	v_mul_f64 v[171:172], v[167:168], s[26:27]
	v_add_f64 v[14:15], v[18:19], v[14:15]
	v_fma_f64 v[18:19], v[32:33], s[16:17], -v[215:216]
	v_add_f64 v[20:21], v[24:25], v[20:21]
	v_fma_f64 v[24:25], v[32:33], s[20:21], -v[148:149]
	v_add_f64 v[148:149], v[62:63], -v[88:89]
	v_add_f64 v[16:17], v[18:19], v[16:17]
	v_fma_f64 v[18:19], v[140:141], s[20:21], -v[217:218]
	v_mul_f64 v[154:155], v[148:149], s[12:13]
	v_mul_f64 v[185:186], v[148:149], s[30:31]
	;; [unrolled: 1-line block ×4, first 2 shown]
	v_add_f64 v[14:15], v[18:19], v[14:15]
	v_fma_f64 v[18:19], v[140:141], s[34:35], -v[219:220]
	v_mul_f64 v[219:220], v[167:168], s[38:39]
	v_fma_f64 v[32:33], v[152:153], s[28:29], v[229:230]
	v_fma_f64 v[235:236], v[152:153], s[20:21], v[233:234]
	v_add_f64 v[16:17], v[18:19], v[16:17]
	v_fma_f64 v[18:19], v[30:31], s[34:35], -v[221:222]
	v_mul_f64 v[221:222], v[167:168], s[12:13]
	v_add_f64 v[14:15], v[18:19], v[14:15]
	v_fma_f64 v[18:19], v[30:31], s[10:11], -v[223:224]
	v_mul_f64 v[223:224], v[173:174], s[36:37]
	;; [unrolled: 3-line block ×3, first 2 shown]
	v_add_f64 v[14:15], v[18:19], v[14:15]
	v_fma_f64 v[18:19], v[138:139], s[24:25], -v[227:228]
	v_add_f64 v[16:17], v[18:19], v[16:17]
	v_fma_f64 v[18:19], v[28:29], s[24:25], -v[165:166]
	v_add_f64 v[18:19], v[18:19], v[159:160]
	v_add_f64 v[159:160], v[56:57], -v[74:75]
	v_add_f64 v[18:19], v[22:23], v[18:19]
	v_fma_f64 v[22:23], v[28:29], s[16:17], -v[34:35]
	v_add_f64 v[34:35], v[38:39], -v[82:83]
	v_fma_f64 v[28:29], v[30:31], s[20:21], -v[177:178]
	v_mul_f64 v[165:166], v[159:160], s[22:23]
	v_mul_f64 v[177:178], v[173:174], s[30:31]
	;; [unrolled: 1-line block ×4, first 2 shown]
	v_add_f64 v[18:19], v[26:27], v[18:19]
	v_add_f64 v[22:23], v[22:23], v[157:158]
	v_fma_f64 v[26:27], v[140:141], s[10:11], -v[175:176]
	v_add_f64 v[175:176], v[40:41], v[42:43]
	v_mul_f64 v[227:228], v[34:35], s[22:23]
	v_mul_f64 v[231:232], v[34:35], s[26:27]
	v_add_f64 v[18:19], v[28:29], v[18:19]
	v_add_f64 v[22:23], v[24:25], v[22:23]
	v_fma_f64 v[24:25], v[140:141], s[24:25], -v[142:143]
	v_add_f64 v[140:141], v[102:103], v[100:101]
	v_mul_f64 v[142:143], v[34:35], s[6:7]
	v_add_f64 v[20:21], v[26:27], v[20:21]
	v_fma_f64 v[26:27], v[30:31], s[16:17], -v[179:180]
	v_fma_f64 v[28:29], v[138:139], s[10:11], -v[181:182]
	v_mul_f64 v[179:180], v[34:35], s[12:13]
	v_mul_f64 v[181:182], v[148:149], s[22:23]
	;; [unrolled: 1-line block ×3, first 2 shown]
	v_add_f64 v[22:23], v[24:25], v[22:23]
	v_fma_f64 v[24:25], v[30:31], s[28:29], -v[136:137]
	v_fma_f64 v[30:31], v[140:141], s[10:11], v[142:143]
	v_add_f64 v[136:137], v[60:61], -v[70:71]
	v_add_f64 v[20:21], v[26:27], v[20:21]
	v_add_f64 v[18:19], v[28:29], v[18:19]
	v_fma_f64 v[26:27], v[138:139], s[28:29], -v[183:184]
	v_mul_f64 v[183:184], v[34:35], s[18:19]
	v_mul_f64 v[34:35], v[34:35], s[30:31]
	v_fma_f64 v[253:254], v[152:153], s[10:11], v[148:149]
	v_fma_f64 v[148:149], v[152:153], s[10:11], -v[148:149]
	v_fma_f64 v[142:143], v[140:141], s[10:11], -v[142:143]
	v_add_f64 v[22:23], v[24:25], v[22:23]
	v_fma_f64 v[24:25], v[138:139], s[34:35], -v[163:164]
	v_add_f64 v[28:29], v[134:135], v[30:31]
	v_fma_f64 v[30:31], v[152:153], s[16:17], v[154:155]
	v_add_f64 v[138:139], v[64:65], v[90:91]
	v_mul_f64 v[157:158], v[136:137], s[18:19]
	v_add_f64 v[163:164], v[52:53], v[68:69]
	v_add_f64 v[20:21], v[26:27], v[20:21]
	v_mul_f64 v[187:188], v[136:137], s[30:31]
	v_mul_f64 v[189:190], v[136:137], s[44:45]
	v_fma_f64 v[154:155], v[152:153], s[16:17], -v[154:155]
	v_add_f64 v[142:143], v[134:135], v[142:143]
	v_add_f64 v[22:23], v[24:25], v[22:23]
	;; [unrolled: 1-line block ×3, first 2 shown]
	v_fma_f64 v[30:31], v[138:139], s[20:21], v[157:158]
	v_fma_f64 v[26:27], v[163:164], s[24:25], v[165:166]
	v_add_f64 v[142:143], v[154:155], v[142:143]
	v_add_f64 v[24:25], v[30:31], v[28:29]
	v_fma_f64 v[28:29], v[152:153], s[24:25], v[181:182]
	v_fma_f64 v[30:31], v[152:153], s[34:35], v[185:186]
	v_add_f64 v[24:25], v[26:27], v[24:25]
	v_fma_f64 v[26:27], v[169:170], s[28:29], v[171:172]
	v_add_f64 v[24:25], v[26:27], v[24:25]
	;; [unrolled: 2-line block ×4, first 2 shown]
	v_add_f64 v[26:27], v[28:29], v[26:27]
	v_fma_f64 v[28:29], v[140:141], s[20:21], v[183:184]
	v_add_f64 v[28:29], v[134:135], v[28:29]
	v_add_f64 v[28:29], v[30:31], v[28:29]
	v_fma_f64 v[30:31], v[138:139], s[34:35], v[187:188]
	v_add_f64 v[26:27], v[30:31], v[26:27]
	v_fma_f64 v[30:31], v[138:139], s[24:25], v[189:190]
	v_add_f64 v[28:29], v[30:31], v[28:29]
	v_fma_f64 v[30:31], v[163:164], s[28:29], v[215:216]
	v_add_f64 v[26:27], v[30:31], v[26:27]
	v_fma_f64 v[30:31], v[163:164], s[10:11], v[217:218]
	v_add_f64 v[28:29], v[30:31], v[28:29]
	v_fma_f64 v[30:31], v[169:170], s[20:21], v[219:220]
	v_add_f64 v[26:27], v[30:31], v[26:27]
	v_fma_f64 v[30:31], v[169:170], s[16:17], v[221:222]
	v_add_f64 v[28:29], v[30:31], v[28:29]
	v_fma_f64 v[30:31], v[175:176], s[10:11], v[223:224]
	v_add_f64 v[26:27], v[30:31], v[26:27]
	v_fma_f64 v[30:31], v[175:176], s[28:29], v[225:226]
	v_add_f64 v[28:29], v[30:31], v[28:29]
	v_fma_f64 v[30:31], v[140:141], s[24:25], v[227:228]
	v_add_f64 v[30:31], v[134:135], v[30:31]
	v_add_f64 v[30:31], v[32:33], v[30:31]
	v_fma_f64 v[32:33], v[140:141], s[28:29], v[231:232]
	v_add_f64 v[32:33], v[134:135], v[32:33]
	v_add_f64 v[32:33], v[235:236], v[32:33]
	v_mul_f64 v[235:236], v[136:137], s[36:37]
	v_fma_f64 v[237:238], v[138:139], s[10:11], v[235:236]
	v_add_f64 v[30:31], v[237:238], v[30:31]
	v_mul_f64 v[237:238], v[136:137], s[12:13]
	v_mul_f64 v[136:137], v[136:137], s[26:27]
	v_fma_f64 v[239:240], v[138:139], s[16:17], v[237:238]
	v_add_f64 v[32:33], v[239:240], v[32:33]
	v_mul_f64 v[239:240], v[159:160], s[18:19]
	v_fma_f64 v[241:242], v[163:164], s[20:21], v[239:240]
	v_add_f64 v[30:31], v[241:242], v[30:31]
	;; [unrolled: 3-line block ×7, first 2 shown]
	v_fma_f64 v[251:252], v[140:141], s[34:35], v[34:35]
	v_fma_f64 v[34:35], v[140:141], s[34:35], -v[34:35]
	v_add_f64 v[251:252], v[134:135], v[251:252]
	v_add_f64 v[34:35], v[134:135], v[34:35]
	;; [unrolled: 1-line block ×4, first 2 shown]
	v_fma_f64 v[148:149], v[138:139], s[28:29], v[136:137]
	v_fma_f64 v[136:137], v[138:139], s[28:29], -v[136:137]
	v_add_f64 v[148:149], v[148:149], v[251:252]
	v_add_f64 v[34:35], v[136:137], v[34:35]
	v_mul_f64 v[136:137], v[159:160], s[42:43]
	v_fma_f64 v[159:160], v[163:164], s[16:17], v[136:137]
	v_fma_f64 v[136:137], v[163:164], s[16:17], -v[136:137]
	v_add_f64 v[148:149], v[159:160], v[148:149]
	v_add_f64 v[34:35], v[136:137], v[34:35]
	v_mul_f64 v[136:137], v[167:168], s[22:23]
	v_fma_f64 v[167:168], v[152:153], s[20:21], -v[233:234]
	v_fma_f64 v[159:160], v[169:170], s[24:25], v[136:137]
	v_fma_f64 v[136:137], v[169:170], s[24:25], -v[136:137]
	v_add_f64 v[148:149], v[159:160], v[148:149]
	v_mul_f64 v[159:160], v[173:174], s[38:39]
	v_add_f64 v[136:137], v[136:137], v[34:35]
	v_fma_f64 v[173:174], v[152:153], s[24:25], -v[181:182]
	v_fma_f64 v[34:35], v[175:176], s[20:21], v[159:160]
	v_add_f64 v[34:35], v[34:35], v[148:149]
	v_fma_f64 v[148:149], v[175:176], s[20:21], -v[159:160]
	v_fma_f64 v[159:160], v[152:153], s[28:29], -v[229:230]
	;; [unrolled: 1-line block ×3, first 2 shown]
	v_add_f64 v[136:137], v[148:149], v[136:137]
	v_fma_f64 v[148:149], v[140:141], s[24:25], -v[227:228]
	v_add_f64 v[148:149], v[134:135], v[148:149]
	v_add_f64 v[148:149], v[159:160], v[148:149]
	v_fma_f64 v[159:160], v[140:141], s[28:29], -v[231:232]
	v_add_f64 v[159:160], v[134:135], v[159:160]
	;; [unrolled: 3-line block ×3, first 2 shown]
	v_fma_f64 v[167:168], v[138:139], s[16:17], -v[237:238]
	v_add_f64 v[159:160], v[167:168], v[159:160]
	v_fma_f64 v[167:168], v[163:164], s[20:21], -v[239:240]
	v_add_f64 v[148:149], v[167:168], v[148:149]
	;; [unrolled: 2-line block ×4, first 2 shown]
	v_fma_f64 v[167:168], v[140:141], s[16:17], -v[179:180]
	v_fma_f64 v[140:141], v[140:141], s[20:21], -v[183:184]
	v_add_f64 v[154:155], v[134:135], v[167:168]
	v_add_f64 v[140:141], v[134:135], v[140:141]
	v_fma_f64 v[167:168], v[169:170], s[10:11], -v[245:246]
	v_add_f64 v[134:135], v[134:135], v[102:103]
	v_add_f64 v[154:155], v[173:174], v[154:155]
	;; [unrolled: 1-line block ×3, first 2 shown]
	v_fma_f64 v[152:153], v[138:139], s[20:21], -v[157:158]
	v_fma_f64 v[157:158], v[138:139], s[34:35], -v[187:188]
	;; [unrolled: 1-line block ×3, first 2 shown]
	v_add_f64 v[159:160], v[167:168], v[159:160]
	v_add_f64 v[134:135], v[134:135], v[72:73]
	;; [unrolled: 1-line block ×5, first 2 shown]
	v_fma_f64 v[154:155], v[163:164], s[24:25], -v[165:166]
	v_fma_f64 v[157:158], v[163:164], s[28:29], -v[215:216]
	;; [unrolled: 1-line block ×4, first 2 shown]
	v_add_f64 v[134:135], v[134:135], v[64:65]
	v_sub_nc_u32_e32 v217, 0, v196
	v_add_f64 v[142:143], v[154:155], v[142:143]
	v_fma_f64 v[154:155], v[169:170], s[28:29], -v[171:172]
	v_add_f64 v[138:139], v[138:139], v[148:149]
	v_add_f64 v[148:149], v[157:158], v[152:153]
	v_add_f64 v[152:153], v[163:164], v[140:141]
	v_fma_f64 v[157:158], v[169:170], s[20:21], -v[219:220]
	v_fma_f64 v[163:164], v[169:170], s[16:17], -v[221:222]
	;; [unrolled: 1-line block ×3, first 2 shown]
	v_add_f64 v[134:135], v[134:135], v[52:53]
	v_lshl_add_u32 v222, v201, 3, 0
	v_lshl_add_u32 v219, v203, 3, 0
	v_sub_nc_u32_e32 v221, 0, v195
	v_add_f64 v[152:153], v[163:164], v[152:153]
	v_add_f64 v[140:141], v[140:141], v[159:160]
	;; [unrolled: 1-line block ×4, first 2 shown]
	v_fma_f64 v[148:149], v[175:176], s[10:11], -v[223:224]
	v_fma_f64 v[154:155], v[175:176], s[28:29], -v[225:226]
	v_add_f64 v[134:135], v[134:135], v[44:45]
	v_fma_f64 v[163:164], v[175:176], s[34:35], -v[177:178]
	v_mov_b32_e32 v158, 3
	v_lshlrev_b32_sdwa v156, v158, v156 dst_sel:DWORD dst_unused:UNUSED_PAD src0_sel:DWORD src1_sel:BYTE_0
	v_add_f64 v[148:149], v[148:149], v[142:143]
	v_add_f64 v[142:143], v[154:155], v[152:153]
	;; [unrolled: 1-line block ×19, first 2 shown]
	v_cndmask_b32_e64 v152, 0, 0xa90, s1
	v_add3_u32 v215, 0, v152, v151
	v_mov_b32_e32 v151, 0xa90
	v_add_f64 v[152:153], v[134:135], v[100:101]
	ds_read_b64 v[134:135], v211
	s_waitcnt lgkmcnt(0)
	s_barrier
	v_mul_u32_u24_sdwa v157, v150, v151 dst_sel:DWORD dst_unused:UNUSED_PAD src0_sel:WORD_0 src1_sel:DWORD
	v_add_f64 v[150:151], v[163:164], v[159:160]
	buffer_gl0_inv
	ds_write2_b64 v215, v[154:155], v[0:1] offset1:26
	ds_write2_b64 v215, v[2:3], v[4:5] offset0:52 offset1:78
	v_add3_u32 v218, 0, v157, v156
	v_sub_nc_u32_e32 v0, 0, v197
	v_add_nc_u32_e32 v220, 0x800, v215
	ds_write2_b64 v215, v[6:7], v[8:9] offset0:104 offset1:130
	ds_write2_b64 v215, v[10:11], v[12:13] offset0:156 offset1:182
	ds_write2_b64 v215, v[16:17], v[14:15] offset0:208 offset1:234
	ds_write2_b64 v220, v[20:21], v[18:19] offset0:4 offset1:30
	ds_write_b64 v215, v[22:23] offset:2496
	ds_write2_b64 v218, v[152:153], v[24:25] offset1:26
	ds_write2_b64 v218, v[26:27], v[28:29] offset0:52 offset1:78
	v_add_nc_u32_e32 v223, 0x800, v218
	ds_write2_b64 v218, v[30:31], v[32:33] offset0:104 offset1:130
	ds_write2_b64 v218, v[34:35], v[136:137] offset0:156 offset1:182
	;; [unrolled: 1-line block ×4, first 2 shown]
	v_add_nc_u32_e32 v216, v192, v0
	ds_write_b64 v218, v[150:151] offset:2496
	s_waitcnt lgkmcnt(0)
	s_barrier
	buffer_gl0_inv
	ds_read_b64 v[160:161], v193
	ds_read_b64 v[158:159], v194
	;; [unrolled: 1-line block ×6, first 2 shown]
                                        ; implicit-def: $vgpr152_vgpr153
                                        ; implicit-def: $vgpr154_vgpr155
	ds_read2_b64 v[20:23], v212 offset0:82 offset1:134
	ds_read2_b64 v[12:15], v209 offset0:164 offset1:216
	ds_read2_b64 v[16:19], v213 offset0:118 offset1:170
	ds_read2_b64 v[4:7], v212 offset0:186 offset1:238
	ds_read2_b64 v[0:3], v210 offset0:12 offset1:64
	ds_read2_b64 v[8:11], v208 offset0:94 offset1:146
	ds_read2_b64 v[32:35], v209 offset0:34 offset1:86
	ds_read2_b64 v[24:27], v210 offset0:116 offset1:168
	ds_read2_b64 v[28:31], v208 offset0:198 offset1:250
	s_and_saveexec_b32 s1, s0
	s_cbranch_execz .LBB0_15
; %bb.14:
	ds_read_b64 v[150:151], v206 offset:5200
	ds_read_b64 v[152:153], v206 offset:7904
	ds_read_b64 v[148:149], v216
	ds_read_b64 v[154:155], v206 offset:10608
.LBB0_15:
	s_or_b32 exec_lo, exec_lo, s1
	v_add_f64 v[128:129], v[128:129], -v[132:133]
	v_add_f64 v[132:133], v[122:123], v[54:55]
	v_add_f64 v[190:191], v[92:93], v[84:85]
	v_add_f64 v[114:115], v[130:131], -v[114:115]
	v_add_f64 v[126:127], v[126:127], -v[112:113]
	;; [unrolled: 1-line block ×4, first 2 shown]
	v_add_f64 v[130:131], v[106:107], v[78:79]
	s_waitcnt lgkmcnt(0)
	s_barrier
	buffer_gl0_inv
	v_add_f64 v[72:73], v[72:73], -v[96:97]
	v_add_f64 v[64:65], v[64:65], -v[90:91]
	;; [unrolled: 1-line block ×5, first 2 shown]
	v_mul_f64 v[136:137], v[132:133], s[10:11]
	v_mul_f64 v[138:139], v[132:133], s[16:17]
	;; [unrolled: 1-line block ×8, first 2 shown]
	v_fma_f64 v[170:171], v[128:129], s[36:37], v[136:137]
	v_fma_f64 v[136:137], v[128:129], s[6:7], v[136:137]
	;; [unrolled: 1-line block ×12, first 2 shown]
	v_add_f64 v[142:143], v[36:37], v[122:123]
	v_add_f64 v[140:141], v[36:37], v[170:171]
	;; [unrolled: 1-line block ×13, first 2 shown]
	v_add_f64 v[36:37], v[124:125], -v[120:121]
	v_mul_f64 v[184:185], v[190:191], s[24:25]
	v_add_f64 v[186:187], v[94:95], v[86:87]
	v_add_f64 v[180:181], v[104:105], v[80:81]
	v_mul_f64 v[120:121], v[130:131], s[20:21]
	v_mul_f64 v[124:125], v[130:131], s[16:17]
	v_add_f64 v[92:93], v[142:143], v[92:93]
	v_fma_f64 v[116:117], v[36:37], s[40:41], v[192:193]
	v_fma_f64 v[112:113], v[36:37], s[44:45], v[184:185]
	v_mul_f64 v[178:179], v[186:187], s[34:35]
	v_mul_f64 v[176:177], v[180:181], s[28:29]
	v_mul_f64 v[182:183], v[180:181], s[10:11]
	v_add_f64 v[92:93], v[92:93], v[94:95]
	v_add_f64 v[94:95], v[102:103], -v[100:101]
	v_fma_f64 v[100:101], v[36:37], s[22:23], v[184:185]
	v_fma_f64 v[102:103], v[36:37], s[30:31], v[192:193]
	v_add_f64 v[116:117], v[116:117], v[194:195]
	v_add_f64 v[112:113], v[112:113], v[188:189]
	v_fma_f64 v[118:119], v[114:115], s[40:41], v[178:179]
	v_mul_f64 v[188:189], v[186:187], s[24:25]
	v_fma_f64 v[142:143], v[114:115], s[30:31], v[178:179]
	v_add_f64 v[92:93], v[92:93], v[104:105]
	v_add_f64 v[112:113], v[118:119], v[112:113]
	v_fma_f64 v[118:119], v[114:115], s[22:23], v[188:189]
	v_add_f64 v[92:93], v[92:93], v[106:107]
	v_add_f64 v[116:117], v[118:119], v[116:117]
	;; [unrolled: 3-line block ×3, first 2 shown]
	v_fma_f64 v[118:119], v[126:127], s[6:7], v[182:183]
	v_add_f64 v[116:117], v[118:119], v[116:117]
	v_fma_f64 v[118:119], v[110:111], s[18:19], v[120:121]
	v_add_f64 v[118:119], v[118:119], v[112:113]
	;; [unrolled: 2-line block ×3, first 2 shown]
	v_add_f64 v[112:113], v[98:99], v[76:77]
	v_add_f64 v[76:77], v[92:93], v[76:77]
	v_fma_f64 v[98:99], v[36:37], s[42:43], v[96:97]
	v_mul_f64 v[92:93], v[186:187], s[20:21]
	v_fma_f64 v[96:97], v[36:37], s[12:13], v[96:97]
	v_mul_f64 v[116:117], v[112:113], s[10:11]
	v_add_f64 v[76:77], v[76:77], v[78:79]
	v_add_f64 v[98:99], v[98:99], v[140:141]
	v_fma_f64 v[106:107], v[114:115], s[38:39], v[92:93]
	v_mul_f64 v[78:79], v[180:181], s[24:25]
	v_fma_f64 v[92:93], v[114:115], s[18:19], v[92:93]
	v_fma_f64 v[194:195], v[108:109], s[6:7], v[116:117]
	v_add_f64 v[76:77], v[76:77], v[80:81]
	v_add_f64 v[80:81], v[38:39], v[82:83]
	v_add_f64 v[38:39], v[134:135], v[38:39]
	v_add_f64 v[98:99], v[106:107], v[98:99]
	v_fma_f64 v[140:141], v[126:127], s[44:45], v[78:79]
	v_fma_f64 v[78:79], v[126:127], s[22:23], v[78:79]
	v_add_f64 v[194:195], v[194:195], v[118:119]
	v_mul_f64 v[118:119], v[112:113], s[28:29]
	v_mul_f64 v[106:107], v[80:81], s[10:11]
	;; [unrolled: 1-line block ×4, first 2 shown]
	v_add_f64 v[38:39], v[38:39], v[62:63]
	v_add_f64 v[76:77], v[76:77], v[86:87]
	;; [unrolled: 1-line block ×4, first 2 shown]
	v_fma_f64 v[224:225], v[108:109], s[46:47], v[118:119]
	v_add_f64 v[38:39], v[38:39], v[60:61]
	v_add_f64 v[60:61], v[60:61], v[70:71]
	;; [unrolled: 1-line block ×7, first 2 shown]
	ds_write2_b64 v215, v[194:195], v[196:197] offset0:52 offset1:78
	v_mul_f64 v[194:195], v[190:191], s[28:29]
	v_add_f64 v[38:39], v[38:39], v[48:49]
	v_mul_f64 v[68:69], v[56:57], s[24:25]
	v_add_f64 v[48:49], v[48:49], v[66:67]
	v_fma_f64 v[196:197], v[36:37], s[26:27], v[194:195]
	v_fma_f64 v[104:105], v[36:37], s[46:47], v[194:195]
	v_fma_f64 v[194:195], v[94:95], s[46:47], v[184:185]
	v_fma_f64 v[184:185], v[94:95], s[26:27], v[184:185]
	v_add_f64 v[38:39], v[38:39], v[46:47]
	v_mul_f64 v[58:59], v[48:49], s[28:29]
	v_add_f64 v[46:47], v[46:47], v[50:51]
	v_add_f64 v[174:175], v[196:197], v[174:175]
	v_mul_f64 v[196:197], v[190:191], s[20:21]
	v_add_f64 v[184:185], v[134:135], v[184:185]
	v_add_f64 v[38:39], v[38:39], v[50:51]
	v_mul_f64 v[42:43], v[46:47], s[10:11]
	v_fma_f64 v[224:225], v[36:37], s[18:19], v[196:197]
	v_add_f64 v[38:39], v[38:39], v[66:67]
	v_fma_f64 v[66:67], v[110:111], s[12:13], v[124:125]
	v_add_f64 v[172:173], v[224:225], v[172:173]
	v_mul_f64 v[224:225], v[186:187], s[10:11]
	v_add_f64 v[38:39], v[38:39], v[74:75]
	v_fma_f64 v[226:227], v[114:115], s[6:7], v[224:225]
	v_add_f64 v[38:39], v[38:39], v[70:71]
	v_add_f64 v[174:175], v[226:227], v[174:175]
	v_mul_f64 v[226:227], v[186:187], s[16:17]
	v_add_f64 v[38:39], v[38:39], v[88:89]
	v_fma_f64 v[228:229], v[114:115], s[42:43], v[226:227]
	v_add_f64 v[38:39], v[38:39], v[82:83]
	v_add_f64 v[172:173], v[228:229], v[172:173]
	v_mul_f64 v[228:229], v[180:181], s[20:21]
	v_fma_f64 v[230:231], v[126:127], s[38:39], v[228:229]
	v_add_f64 v[174:175], v[230:231], v[174:175]
	v_mul_f64 v[230:231], v[180:181], s[34:35]
	v_fma_f64 v[232:233], v[126:127], s[30:31], v[230:231]
	;; [unrolled: 3-line block ×6, first 2 shown]
	v_add_f64 v[172:173], v[240:241], v[172:173]
	ds_write2_b64 v215, v[174:175], v[172:173] offset0:104 offset1:130
	v_mul_f64 v[172:173], v[190:191], s[10:11]
	v_fma_f64 v[174:175], v[36:37], s[6:7], v[172:173]
	v_fma_f64 v[172:173], v[36:37], s[36:37], v[172:173]
	;; [unrolled: 1-line block ×3, first 2 shown]
	v_add_f64 v[170:171], v[174:175], v[170:171]
	v_add_f64 v[168:169], v[172:173], v[168:169]
	v_mul_f64 v[172:173], v[186:187], s[28:29]
	v_fma_f64 v[186:187], v[94:95], s[36:37], v[106:107]
	v_fma_f64 v[106:107], v[94:95], s[6:7], v[106:107]
	v_add_f64 v[36:37], v[36:37], v[138:139]
	v_fma_f64 v[174:175], v[114:115], s[46:47], v[172:173]
	v_fma_f64 v[172:173], v[114:115], s[26:27], v[172:173]
	v_add_f64 v[106:107], v[134:135], v[106:107]
	v_add_f64 v[170:171], v[174:175], v[170:171]
	;; [unrolled: 1-line block ×3, first 2 shown]
	v_mul_f64 v[172:173], v[180:181], s[16:17]
	v_mul_f64 v[180:181], v[80:81], s[20:21]
	v_fma_f64 v[174:175], v[126:127], s[12:13], v[172:173]
	v_fma_f64 v[172:173], v[126:127], s[42:43], v[172:173]
	;; [unrolled: 1-line block ×4, first 2 shown]
	v_add_f64 v[170:171], v[174:175], v[170:171]
	v_add_f64 v[168:169], v[172:173], v[168:169]
	v_mul_f64 v[172:173], v[130:131], s[24:25]
	v_add_f64 v[180:181], v[134:135], v[180:181]
	v_fma_f64 v[174:175], v[110:111], s[44:45], v[172:173]
	v_fma_f64 v[172:173], v[110:111], s[22:23], v[172:173]
	v_add_f64 v[170:171], v[174:175], v[170:171]
	v_add_f64 v[168:169], v[172:173], v[168:169]
	v_mul_f64 v[172:173], v[112:113], s[20:21]
	v_fma_f64 v[174:175], v[108:109], s[18:19], v[172:173]
	v_fma_f64 v[172:173], v[108:109], s[38:39], v[172:173]
	v_add_f64 v[170:171], v[174:175], v[170:171]
	v_add_f64 v[168:169], v[172:173], v[168:169]
	v_fma_f64 v[174:175], v[126:127], s[36:37], v[182:183]
	v_mul_f64 v[182:183], v[80:81], s[24:25]
	v_mul_f64 v[80:81], v[80:81], s[34:35]
	v_fma_f64 v[172:173], v[126:127], s[46:47], v[176:177]
	v_fma_f64 v[176:177], v[126:127], s[18:19], v[228:229]
	;; [unrolled: 1-line block ×3, first 2 shown]
	ds_write2_b64 v215, v[170:171], v[168:169] offset0:156 offset1:182
	v_fma_f64 v[168:169], v[114:115], s[44:45], v[188:189]
	v_fma_f64 v[170:171], v[114:115], s[36:37], v[224:225]
	;; [unrolled: 1-line block ×8, first 2 shown]
	v_add_f64 v[94:95], v[96:97], v[122:123]
	v_add_f64 v[96:97], v[100:101], v[128:129]
	;; [unrolled: 1-line block ×4, first 2 shown]
	v_fma_f64 v[114:115], v[114:115], s[12:13], v[226:227]
	v_mul_f64 v[104:105], v[86:87], s[16:17]
	v_mul_f64 v[122:123], v[86:87], s[24:25]
	v_mul_f64 v[128:129], v[86:87], s[34:35]
	v_mul_f64 v[132:133], v[86:87], s[28:29]
	v_mul_f64 v[136:137], v[86:87], s[20:21]
	v_mul_f64 v[86:87], v[86:87], s[10:11]
	v_add_f64 v[178:179], v[134:135], v[178:179]
	v_add_f64 v[182:183], v[134:135], v[182:183]
	;; [unrolled: 1-line block ×7, first 2 shown]
	v_mul_f64 v[102:103], v[130:131], s[28:29]
	v_fma_f64 v[138:139], v[72:73], s[42:43], v[104:105]
	v_fma_f64 v[104:105], v[72:73], s[12:13], v[104:105]
	;; [unrolled: 1-line block ×12, first 2 shown]
	v_add_f64 v[36:37], v[114:115], v[36:37]
	v_add_f64 v[86:87], v[134:135], v[186:187]
	;; [unrolled: 1-line block ×9, first 2 shown]
	v_fma_f64 v[96:97], v[110:111], s[26:27], v[102:103]
	v_fma_f64 v[114:115], v[110:111], s[46:47], v[102:103]
	v_mul_f64 v[102:103], v[60:61], s[24:25]
	v_mul_f64 v[134:135], v[60:61], s[16:17]
	v_add_f64 v[84:85], v[104:105], v[106:107]
	v_add_f64 v[90:91], v[122:123], v[178:179]
	;; [unrolled: 1-line block ×3, first 2 shown]
                                        ; implicit-def: $vgpr174_vgpr175
	v_add_f64 v[122:123], v[132:133], v[182:183]
	v_add_f64 v[130:131], v[136:137], v[184:185]
	;; [unrolled: 1-line block ×6, first 2 shown]
	v_mul_f64 v[100:101], v[60:61], s[34:35]
	v_mul_f64 v[126:127], v[60:61], s[10:11]
	v_add_f64 v[62:63], v[138:139], v[86:87]
	v_add_f64 v[86:87], v[140:141], v[186:187]
	;; [unrolled: 1-line block ×5, first 2 shown]
	v_mul_f64 v[96:97], v[60:61], s[20:21]
	v_mul_f64 v[60:61], v[60:61], s[28:29]
	v_add_f64 v[98:99], v[114:115], v[98:99]
	v_add_f64 v[114:115], v[226:227], v[190:191]
	;; [unrolled: 1-line block ×3, first 2 shown]
	v_fma_f64 v[140:141], v[64:65], s[22:23], v[102:103]
	v_fma_f64 v[102:103], v[64:65], s[44:45], v[102:103]
	;; [unrolled: 1-line block ×4, first 2 shown]
                                        ; implicit-def: $vgpr172_vgpr173
	v_fma_f64 v[138:139], v[64:65], s[40:41], v[100:101]
	v_fma_f64 v[100:101], v[64:65], s[30:31], v[100:101]
	;; [unrolled: 1-line block ×8, first 2 shown]
	v_add_f64 v[74:75], v[138:139], v[86:87]
	v_add_f64 v[86:87], v[140:141], v[104:105]
	v_add_f64 v[104:105], v[134:135], v[130:131]
	v_add_f64 v[62:63], v[136:137], v[62:63]
	v_add_f64 v[64:65], v[96:97], v[84:85]
	v_add_f64 v[84:85], v[100:101], v[90:91]
	v_add_f64 v[96:97], v[142:143], v[114:115]
	v_add_f64 v[100:101], v[126:127], v[122:123]
	v_add_f64 v[60:61], v[60:61], v[72:73]
	v_mul_f64 v[72:73], v[56:57], s[28:29]
	v_mul_f64 v[114:115], v[56:57], s[10:11]
	;; [unrolled: 1-line block ×5, first 2 shown]
	v_add_f64 v[90:91], v[102:103], v[106:107]
	v_add_f64 v[102:103], v[168:169], v[128:129]
	;; [unrolled: 1-line block ×3, first 2 shown]
	v_fma_f64 v[128:129], v[52:53], s[44:45], v[68:69]
	v_fma_f64 v[68:69], v[52:53], s[22:23], v[68:69]
	;; [unrolled: 1-line block ×12, first 2 shown]
	v_add_f64 v[64:65], v[68:69], v[64:65]
	v_fma_f64 v[56:57], v[110:111], s[38:39], v[120:121]
	v_add_f64 v[62:63], v[128:129], v[62:63]
	v_add_f64 v[68:69], v[130:131], v[74:75]
	;; [unrolled: 1-line block ×11, first 2 shown]
	v_mul_f64 v[60:61], v[48:49], s[20:21]
	v_mul_f64 v[102:103], v[48:49], s[16:17]
	;; [unrolled: 1-line block ×5, first 2 shown]
	v_fma_f64 v[114:115], v[44:45], s[46:47], v[58:59]
	v_fma_f64 v[58:59], v[44:45], s[26:27], v[58:59]
	v_add_f64 v[56:57], v[56:57], v[80:81]
	v_fma_f64 v[80:81], v[110:111], s[40:41], v[232:233]
	v_fma_f64 v[110:111], v[110:111], s[36:37], v[234:235]
	;; [unrolled: 1-line block ×12, first 2 shown]
	v_add_f64 v[48:49], v[66:67], v[92:93]
	v_mul_f64 v[66:67], v[112:113], s[34:35]
	v_add_f64 v[58:59], v[58:59], v[64:65]
	v_add_f64 v[50:51], v[80:81], v[94:95]
	;; [unrolled: 1-line block ×3, first 2 shown]
	v_fma_f64 v[92:93], v[108:109], s[36:37], v[116:117]
	v_fma_f64 v[94:95], v[108:109], s[26:27], v[118:119]
	;; [unrolled: 1-line block ×3, first 2 shown]
	v_add_f64 v[62:63], v[114:115], v[62:63]
	v_add_f64 v[64:65], v[120:121], v[68:69]
	;; [unrolled: 1-line block ×11, first 2 shown]
	v_mul_f64 v[52:53], v[46:47], s[28:29]
	v_mul_f64 v[90:91], v[46:47], s[16:17]
	;; [unrolled: 1-line block ×5, first 2 shown]
	v_fma_f64 v[80:81], v[108:109], s[40:41], v[66:67]
	v_fma_f64 v[66:67], v[108:109], s[30:31], v[66:67]
	;; [unrolled: 1-line block ×5, first 2 shown]
	v_add_f64 v[50:51], v[110:111], v[50:51]
	v_add_f64 v[56:57], v[92:93], v[56:57]
	;; [unrolled: 1-line block ×3, first 2 shown]
	v_fma_f64 v[104:105], v[40:41], s[46:47], v[52:53]
	v_fma_f64 v[106:107], v[40:41], s[12:13], v[90:91]
	;; [unrolled: 1-line block ×10, first 2 shown]
	v_add_f64 v[46:47], v[80:81], v[98:99]
	v_add_f64 v[36:37], v[108:109], v[36:37]
	;; [unrolled: 1-line block ×15, first 2 shown]
	ds_write2_b64 v215, v[54:55], v[46:47] offset1:26
	ds_write2_b64 v215, v[36:37], v[50:51] offset0:208 offset1:234
	ds_write2_b64 v220, v[48:49], v[56:57] offset0:4 offset1:30
	ds_write_b64 v215, v[66:67] offset:2496
	ds_write2_b64 v218, v[38:39], v[62:63] offset1:26
	ds_write2_b64 v218, v[64:65], v[42:43] offset0:52 offset1:78
	ds_write2_b64 v218, v[60:61], v[72:73] offset0:104 offset1:130
	;; [unrolled: 1-line block ×5, first 2 shown]
	ds_write_b64 v218, v[170:171] offset:2496
	v_add_nc_u32_e32 v60, v207, v221
	v_add_nc_u32_e32 v61, v205, v217
	s_waitcnt lgkmcnt(0)
	s_barrier
	buffer_gl0_inv
	ds_read2_b64 v[36:39], v212 offset0:82 offset1:134
	ds_read2_b64 v[44:47], v209 offset0:164 offset1:216
	;; [unrolled: 1-line block ×6, first 2 shown]
	ds_read_b64 v[180:181], v60
	ds_read_b64 v[178:179], v61
	ds_read2_b64 v[60:63], v209 offset0:34 offset1:86
	ds_read2_b64 v[64:67], v210 offset0:116 offset1:168
	ds_read_b64 v[186:187], v206
	ds_read_b64 v[184:185], v211
	;; [unrolled: 1-line block ×4, first 2 shown]
	ds_read2_b64 v[68:71], v208 offset0:198 offset1:250
	s_and_saveexec_b32 s1, s0
	s_cbranch_execz .LBB0_17
; %bb.16:
	ds_read_b64 v[170:171], v206 offset:5200
	ds_read_b64 v[172:173], v206 offset:7904
	ds_read_b64 v[168:169], v216
	ds_read_b64 v[174:175], v206 offset:10608
	v_mov_b32_e32 v214, v204
.LBB0_17:
	s_or_b32 exec_lo, exec_lo, s1
	s_and_saveexec_b32 s0, vcc_lo
	s_cbranch_execz .LBB0_20
; %bb.18:
	v_mul_i32_i24_e32 v176, 3, v203
	v_mov_b32_e32 v177, 0
	v_mul_u32_u24_e32 v98, 3, v198
	v_mul_hi_u32 v191, 0x60f25deb, v198
	v_add_nc_u32_e32 v192, 52, v198
	v_add_nc_u32_e32 v193, 0x68, v198
	v_lshlrev_b64 v[72:73], 4, v[176:177]
	v_mul_i32_i24_e32 v176, 3, v202
	v_lshlrev_b32_e32 v106, 4, v98
	v_mul_lo_u32 v190, s4, v147
	v_add_nc_u32_e32 v194, 0x9c, v198
	v_mul_hi_u32 v196, 0x60f25deb, v192
	v_add_co_u32 v76, vcc_lo, s8, v72
	v_add_co_ci_u32_e32 v77, vcc_lo, s9, v73, vcc_lo
	v_lshlrev_b64 v[72:73], 4, v[176:177]
	v_add_co_u32 v74, vcc_lo, 0x1500, v76
	v_add_co_ci_u32_e32 v75, vcc_lo, 0, v77, vcc_lo
	v_mul_i32_i24_e32 v176, 3, v201
	v_add_co_u32 v78, vcc_lo, s8, v72
	v_add_co_ci_u32_e32 v79, vcc_lo, s9, v73, vcc_lo
	v_add_co_u32 v80, vcc_lo, 0x1000, v76
	v_add_co_ci_u32_e32 v81, vcc_lo, 0, v77, vcc_lo
	v_add_co_u32 v72, vcc_lo, 0x1000, v78
	v_lshlrev_b64 v[92:93], 4, v[176:177]
	v_add_co_ci_u32_e32 v73, vcc_lo, 0, v79, vcc_lo
	v_add_co_u32 v82, vcc_lo, 0x1500, v78
	v_add_co_ci_u32_e32 v83, vcc_lo, 0, v79, vcc_lo
	v_add_co_u32 v96, vcc_lo, s8, v92
	v_add_co_ci_u32_e32 v97, vcc_lo, s9, v93, vcc_lo
	v_mul_i32_i24_e32 v176, 3, v200
	v_add_co_u32 v100, vcc_lo, 0x1500, v96
	v_add_co_u32 v108, s0, s8, v106
	v_add_co_ci_u32_e32 v101, vcc_lo, 0, v97, vcc_lo
	v_add_co_u32 v104, vcc_lo, 0x1000, v96
	v_add_co_ci_u32_e64 v109, null, s9, 0, s0
	v_add_co_ci_u32_e32 v105, vcc_lo, 0, v97, vcc_lo
	v_lshlrev_b64 v[106:107], 4, v[176:177]
	v_add_co_u32 v120, vcc_lo, 0x1500, v108
	v_add_co_ci_u32_e32 v121, vcc_lo, 0, v109, vcc_lo
	v_add_co_u32 v108, vcc_lo, 0x1000, v108
	v_add_co_ci_u32_e32 v109, vcc_lo, 0, v109, vcc_lo
	v_add_co_u32 v110, vcc_lo, s8, v106
	v_mul_i32_i24_e32 v176, 3, v199
	s_clause 0x5
	global_load_dwordx4 v[84:87], v[74:75], off offset:32
	global_load_dwordx4 v[88:91], v[74:75], off offset:16
	global_load_dwordx4 v[72:75], v[72:73], off offset:1280
	global_load_dwordx4 v[76:79], v[82:83], off offset:32
	global_load_dwordx4 v[92:95], v[80:81], off offset:1280
	global_load_dwordx4 v[80:83], v[82:83], off offset:16
	v_add_co_ci_u32_e32 v111, vcc_lo, s9, v107, vcc_lo
	v_add_co_u32 v106, vcc_lo, 0x1000, v110
	v_lshlrev_b64 v[112:113], 4, v[176:177]
	s_clause 0x3
	global_load_dwordx4 v[96:99], v[100:101], off offset:32
	global_load_dwordx4 v[100:103], v[100:101], off offset:16
	;; [unrolled: 1-line block ×4, first 2 shown]
	v_add_co_ci_u32_e32 v107, vcc_lo, 0, v111, vcc_lo
	v_add_co_u32 v122, vcc_lo, 0x1500, v110
	v_add_co_ci_u32_e32 v123, vcc_lo, 0, v111, vcc_lo
	v_add_co_u32 v116, vcc_lo, s8, v112
	v_add_co_ci_u32_e32 v117, vcc_lo, s9, v113, vcc_lo
	global_load_dwordx4 v[108:111], v[106:107], off offset:1280
	v_add_co_u32 v128, vcc_lo, 0x1500, v116
	v_add_co_ci_u32_e32 v129, vcc_lo, 0, v117, vcc_lo
	v_add_co_u32 v124, vcc_lo, 0x1000, v116
	v_add_co_ci_u32_e32 v125, vcc_lo, 0, v117, vcc_lo
	s_clause 0x6
	global_load_dwordx4 v[104:107], v[104:105], off offset:1280
	global_load_dwordx4 v[112:115], v[122:123], off offset:16
	;; [unrolled: 1-line block ×7, first 2 shown]
	v_mul_lo_u32 v176, s5, v146
	v_mad_u64_u32 v[146:147], null, s4, v146, 0
	v_mul_hi_u32 v197, 0x60f25deb, v193
	v_lshrrev_b32_e32 v191, 7, v191
	v_add_nc_u32_e32 v195, 0xd0, v198
	v_mul_hi_u32 v199, 0x60f25deb, v194
	v_lshrrev_b32_e32 v196, 7, v196
	v_lshlrev_b64 v[144:145], 4, v[144:145]
	v_add3_u32 v147, v147, v190, v176
	v_mul_u32_u24_e32 v190, 0x152, v191
	v_mul_hi_u32 v176, 0x60f25deb, v195
	v_lshrrev_b32_e32 v197, 7, v197
	v_lshrrev_b32_e32 v199, 7, v199
	v_sub_nc_u32_e32 v203, v198, v190
	v_mul_u32_u24_e32 v190, 0x152, v196
	v_lshlrev_b64 v[146:147], 4, v[146:147]
	v_mul_u32_u24_e32 v191, 0x152, v197
	v_lshrrev_b32_e32 v176, 7, v176
	v_add_nc_u32_e32 v221, 0x152, v203
	v_mul_u32_u24_e32 v200, 0x152, v199
	v_add_nc_u32_e32 v223, 0x2a4, v203
	v_sub_nc_u32_e32 v205, v192, v190
	v_sub_nc_u32_e32 v206, v193, v191
	v_add_co_u32 v202, vcc_lo, s14, v146
	v_mul_u32_u24_e32 v201, 0x152, v176
	v_add_co_ci_u32_e32 v204, vcc_lo, s15, v147, vcc_lo
	v_mad_u64_u32 v[146:147], null, s2, v203, 0
	v_add_nc_u32_e32 v224, 0x3f6, v203
	v_mad_u64_u32 v[190:191], null, s2, v221, 0
	v_sub_nc_u32_e32 v200, v194, v200
	v_mad_u64_u32 v[192:193], null, s2, v223, 0
	v_mad_u32_u24 v225, 0x548, v196, v205
	v_mad_u32_u24 v226, 0x548, v197, v206
	v_sub_nc_u32_e32 v201, v195, v201
	v_mad_u64_u32 v[194:195], null, s2, v224, 0
	v_add_co_u32 v144, vcc_lo, v202, v144
	v_mad_u32_u24 v227, 0x548, v199, v200
	v_mad_u64_u32 v[196:197], null, s2, v225, 0
	v_add_nc_u32_e32 v231, 0x152, v226
	v_add_co_ci_u32_e32 v145, vcc_lo, v204, v145, vcc_lo
	v_add_nc_u32_e32 v228, 0x152, v225
	v_add_nc_u32_e32 v232, 0x2a4, v226
	v_mad_u64_u32 v[203:204], null, s3, v203, v[147:148]
	v_mov_b32_e32 v147, v191
	v_mad_u32_u24 v247, 0x548, v176, v201
	v_mov_b32_e32 v176, v193
	v_mad_u64_u32 v[199:200], null, s2, v226, 0
	v_add_nc_u32_e32 v229, 0x2a4, v225
	v_add_nc_u32_e32 v233, 0x3f6, v226
	v_mad_u64_u32 v[201:202], null, s2, v227, 0
	v_add_nc_u32_e32 v230, 0x3f6, v225
	v_add_nc_u32_e32 v234, 0x152, v227
	v_mad_u64_u32 v[210:211], null, s2, v231, 0
	v_add_nc_u32_e32 v235, 0x2a4, v227
	v_mov_b32_e32 v191, v195
	v_mad_u64_u32 v[204:205], null, s2, v228, 0
	v_mad_u64_u32 v[212:213], null, s2, v232, 0
	;; [unrolled: 1-line block ×4, first 2 shown]
	v_mov_b32_e32 v176, v197
	v_mad_u64_u32 v[206:207], null, s2, v229, 0
	v_mad_u64_u32 v[215:216], null, s2, v233, 0
	;; [unrolled: 1-line block ×6, first 2 shown]
	v_mov_b32_e32 v191, v200
	v_mov_b32_e32 v193, v202
	;; [unrolled: 1-line block ×3, first 2 shown]
	v_mad_u64_u32 v[202:203], null, s3, v225, v[176:177]
	v_mov_b32_e32 v203, v211
	v_mov_b32_e32 v176, v205
	;; [unrolled: 1-line block ×3, first 2 shown]
	v_mad_u64_u32 v[224:225], null, s3, v226, v[191:192]
	v_mov_b32_e32 v197, v207
	v_mov_b32_e32 v207, v216
	v_mad_u64_u32 v[225:226], null, s3, v227, v[193:194]
	v_add_nc_u32_e32 v248, 0x3f6, v227
	v_mov_b32_e32 v200, v209
	v_mov_b32_e32 v209, v218
	v_mad_u64_u32 v[226:227], null, s3, v231, v[203:204]
	v_mov_b32_e32 v211, v220
	v_mov_b32_e32 v191, v221
	v_mad_u64_u32 v[220:221], null, s3, v228, v[176:177]
	v_mad_u64_u32 v[227:228], null, s3, v232, v[205:206]
	v_mov_b32_e32 v193, v222
	v_mad_u64_u32 v[221:222], null, s3, v229, v[197:198]
	v_mad_u64_u32 v[228:229], null, s3, v233, v[207:208]
	;; [unrolled: 3-line block ×3, first 2 shown]
	v_mad_u64_u32 v[230:231], null, s3, v235, v[211:212]
	v_mov_b32_e32 v197, v202
	v_mov_b32_e32 v200, v224
	;; [unrolled: 1-line block ×10, first 2 shown]
	v_lshlrev_b64 v[146:147], 4, v[146:147]
	v_lshlrev_b64 v[190:191], 4, v[190:191]
	;; [unrolled: 1-line block ×6, first 2 shown]
	v_add_co_u32 v146, vcc_lo, v144, v146
	v_add_co_ci_u32_e32 v147, vcc_lo, v145, v147, vcc_lo
	v_add_co_u32 v190, vcc_lo, v144, v190
	v_add_co_ci_u32_e32 v191, vcc_lo, v145, v191, vcc_lo
	v_add_co_u32 v192, vcc_lo, v144, v192
	v_add_co_ci_u32_e32 v193, vcc_lo, v145, v193, vcc_lo
	v_add_co_u32 v194, vcc_lo, v144, v194
	v_add_co_ci_u32_e32 v195, vcc_lo, v145, v195, vcc_lo
	v_lshlrev_b64 v[201:202], 4, v[201:202]
	v_add_co_u32 v196, vcc_lo, v144, v196
	v_add_co_ci_u32_e32 v197, vcc_lo, v145, v197, vcc_lo
	v_lshlrev_b64 v[203:204], 4, v[204:205]
	v_add_co_u32 v199, vcc_lo, v144, v199
	v_add_co_ci_u32_e32 v200, vcc_lo, v145, v200, vcc_lo
	;; [unrolled: 3-line block ×7, first 2 shown]
	v_add_co_u32 v211, vcc_lo, v144, v211
	v_add_co_ci_u32_e32 v212, vcc_lo, v145, v212, vcc_lo
	v_add_co_u32 v215, vcc_lo, v144, v215
	v_add_co_ci_u32_e32 v216, vcc_lo, v145, v216, vcc_lo
	v_lshlrev_b64 v[217:218], 4, v[217:218]
	s_waitcnt vmcnt(17) lgkmcnt(0)
	v_mul_f64 v[228:229], v[70:71], v[86:87]
	s_waitcnt vmcnt(16)
	v_mul_f64 v[224:225], v[26:27], v[90:91]
	v_mul_f64 v[90:91], v[66:67], v[90:91]
	s_waitcnt vmcnt(13)
	v_mul_f64 v[226:227], v[62:63], v[94:95]
	v_mul_f64 v[94:95], v[34:35], v[94:95]
	;; [unrolled: 1-line block ×3, first 2 shown]
	s_waitcnt vmcnt(12)
	v_mul_f64 v[231:232], v[24:25], v[82:83]
	v_mul_f64 v[233:234], v[60:61], v[74:75]
	;; [unrolled: 1-line block ×4, first 2 shown]
	s_waitcnt vmcnt(9)
	v_mul_f64 v[220:221], v[20:21], v[136:137]
	v_mul_f64 v[20:21], v[20:21], v[138:139]
	s_waitcnt vmcnt(8)
	v_mul_f64 v[222:223], v[40:41], v[142:143]
	v_mul_f64 v[142:143], v[16:17], v[142:143]
	;; [unrolled: 1-line block ×8, first 2 shown]
	s_waitcnt vmcnt(7)
	v_mul_f64 v[245:246], v[48:49], v[110:111]
	v_fma_f64 v[66:67], v[66:67], v[88:89], -v[224:225]
	v_fma_f64 v[26:27], v[26:27], v[88:89], v[90:91]
	v_fma_f64 v[34:35], v[34:35], v[92:93], v[226:227]
	v_fma_f64 v[62:63], v[62:63], v[92:93], -v[94:95]
	v_fma_f64 v[30:31], v[30:31], v[84:85], v[228:229]
	v_fma_f64 v[70:71], v[70:71], v[84:85], -v[86:87]
	v_fma_f64 v[64:65], v[64:65], v[80:81], -v[231:232]
	s_waitcnt vmcnt(3)
	v_mul_f64 v[88:89], v[22:23], v[126:127]
	s_waitcnt vmcnt(2)
	v_mul_f64 v[90:91], v[12:13], v[134:135]
	v_mul_f64 v[92:93], v[44:45], v[134:135]
	v_fma_f64 v[138:139], v[36:37], v[138:139], v[220:221]
	v_fma_f64 v[20:21], v[36:37], v[136:137], -v[20:21]
	v_mul_f64 v[36:37], v[4:5], v[110:111]
	v_mul_f64 v[110:111], v[14:15], v[118:119]
	;; [unrolled: 1-line block ×4, first 2 shown]
	s_waitcnt vmcnt(1)
	v_mul_f64 v[94:95], v[18:19], v[130:131]
	v_mul_f64 v[84:85], v[42:43], v[130:131]
	;; [unrolled: 1-line block ×3, first 2 shown]
	s_waitcnt vmcnt(0)
	v_mul_f64 v[86:87], v[8:9], v[122:123]
	v_mul_f64 v[114:115], v[56:57], v[114:115]
	;; [unrolled: 1-line block ×4, first 2 shown]
	v_fma_f64 v[16:17], v[16:17], v[140:141], v[222:223]
	v_fma_f64 v[40:41], v[40:41], v[140:141], -v[142:143]
	v_mul_f64 v[106:107], v[6:7], v[106:107]
	v_fma_f64 v[32:33], v[32:33], v[72:73], v[233:234]
	v_fma_f64 v[60:61], v[60:61], v[72:73], -v[74:75]
	v_fma_f64 v[72:73], v[4:5], v[108:109], v[245:246]
	v_fma_f64 v[38:39], v[38:39], v[124:125], -v[88:89]
	v_fma_f64 v[44:45], v[44:45], v[132:133], -v[90:91]
	v_fma_f64 v[12:13], v[12:13], v[132:133], v[92:93]
	v_fma_f64 v[24:25], v[24:25], v[80:81], v[82:83]
	v_fma_f64 v[68:69], v[68:69], v[76:77], -v[78:79]
	v_fma_f64 v[36:37], v[48:49], v[108:109], -v[36:37]
	;; [unrolled: 1-line block ×3, first 2 shown]
	v_fma_f64 v[22:23], v[22:23], v[124:125], v[136:137]
	v_fma_f64 v[14:15], v[14:15], v[116:117], v[118:119]
	v_fma_f64 v[42:43], v[42:43], v[128:129], -v[94:95]
	v_fma_f64 v[18:19], v[18:19], v[128:129], v[84:85]
	v_fma_f64 v[56:57], v[56:57], v[112:113], -v[243:244]
	v_fma_f64 v[46:47], v[52:53], v[120:121], -v[86:87]
	v_fma_f64 v[0:1], v[0:1], v[112:113], v[114:115]
	v_fma_f64 v[8:9], v[8:9], v[120:121], v[122:123]
	v_fma_f64 v[58:59], v[58:59], v[100:101], -v[237:238]
	v_fma_f64 v[6:7], v[6:7], v[104:105], v[239:240]
	v_fma_f64 v[10:11], v[10:11], v[96:97], v[241:242]
	v_add_f64 v[16:17], v[138:139], -v[16:17]
	v_add_f64 v[40:41], v[20:21], -v[40:41]
	v_add_f64 v[79:80], v[178:179], -v[64:65]
	v_fma_f64 v[48:49], v[50:51], v[104:105], -v[106:107]
	v_fma_f64 v[50:51], v[54:55], v[96:97], -v[98:99]
	v_add_f64 v[52:53], v[186:187], -v[44:45]
	v_add_f64 v[64:65], v[166:167], -v[12:13]
	v_fma_f64 v[28:29], v[28:29], v[76:77], v[235:236]
	v_add_f64 v[74:75], v[188:189], -v[66:67]
	v_add_f64 v[77:78], v[162:163], -v[26:27]
	;; [unrolled: 1-line block ×7, first 2 shown]
	v_fma_f64 v[2:3], v[2:3], v[100:101], v[102:103]
	v_add_f64 v[81:82], v[180:181], -v[56:57]
	v_add_f64 v[44:45], v[36:37], -v[46:47]
	;; [unrolled: 1-line block ×7, first 2 shown]
	v_fma_f64 v[9:10], v[20:21], 2.0, -v[40:41]
	v_fma_f64 v[18:19], v[138:139], 2.0, -v[16:17]
	v_add_f64 v[30:31], v[34:35], -v[30:31]
	v_add_f64 v[50:51], v[48:49], -v[50:51]
	v_fma_f64 v[68:69], v[186:187], 2.0, -v[52:53]
	v_fma_f64 v[93:94], v[166:167], 2.0, -v[64:65]
	v_add_f64 v[54:55], v[32:33], -v[28:29]
	v_add_f64 v[85:86], v[158:159], -v[24:25]
	v_fma_f64 v[91:92], v[188:189], 2.0, -v[74:75]
	v_fma_f64 v[103:104], v[162:163], 2.0, -v[77:78]
	v_fma_f64 v[95:96], v[184:185], 2.0, -v[66:67]
	v_fma_f64 v[97:98], v[164:165], 2.0, -v[70:71]
	v_fma_f64 v[20:21], v[38:39], 2.0, -v[42:43]
	v_fma_f64 v[22:23], v[22:23], 2.0, -v[13:14]
	v_add_f64 v[89:90], v[156:157], -v[2:3]
	v_fma_f64 v[99:100], v[180:181], 2.0, -v[81:82]
	v_fma_f64 v[28:29], v[36:37], 2.0, -v[44:45]
	;; [unrolled: 1-line block ×7, first 2 shown]
	v_add_f64 v[7:8], v[52:53], -v[16:17]
	v_add_f64 v[5:6], v[64:65], v[40:41]
	v_fma_f64 v[62:63], v[34:35], 2.0, -v[30:31]
	v_fma_f64 v[48:49], v[48:49], 2.0, -v[50:51]
	v_add_f64 v[11:12], v[68:69], -v[9:10]
	v_add_f64 v[9:10], v[93:94], -v[18:19]
	v_fma_f64 v[105:106], v[178:179], 2.0, -v[79:80]
	v_fma_f64 v[60:61], v[60:61], 2.0, -v[56:57]
	v_add_f64 v[15:16], v[66:67], -v[13:14]
	v_add_f64 v[13:14], v[70:71], v[42:43]
	v_add_f64 v[1:2], v[77:78], v[26:27]
	v_fma_f64 v[107:108], v[158:159], 2.0, -v[85:86]
	v_add_f64 v[19:20], v[95:96], -v[20:21]
	v_add_f64 v[17:18], v[97:98], -v[22:23]
	v_fma_f64 v[111:112], v[156:157], 2.0, -v[89:90]
	v_fma_f64 v[72:73], v[32:33], 2.0, -v[54:55]
	v_add_f64 v[27:28], v[99:100], -v[28:29]
	v_add_f64 v[23:24], v[81:82], -v[46:47]
	;; [unrolled: 1-line block ×3, first 2 shown]
	v_add_f64 v[21:22], v[83:84], v[44:45]
	v_add_f64 v[3:4], v[74:75], -v[30:31]
	v_add_f64 v[31:32], v[79:80], -v[54:55]
	v_add_f64 v[29:30], v[85:86], v[56:57]
	v_add_f64 v[33:34], v[89:90], v[50:51]
	v_fma_f64 v[51:52], v[52:53], 2.0, -v[7:8]
	v_add_f64 v[47:48], v[109:110], -v[48:49]
	v_fma_f64 v[55:56], v[68:69], 2.0, -v[11:12]
	v_fma_f64 v[53:54], v[93:94], 2.0, -v[9:10]
	;; [unrolled: 1-line block ×3, first 2 shown]
	v_add_f64 v[39:40], v[91:92], -v[38:39]
	v_add_f64 v[37:38], v[103:104], -v[62:63]
	;; [unrolled: 1-line block ×4, first 2 shown]
	v_fma_f64 v[59:60], v[66:67], 2.0, -v[15:16]
	v_fma_f64 v[63:64], v[95:96], 2.0, -v[19:20]
	;; [unrolled: 1-line block ×4, first 2 shown]
	v_add_f64 v[45:46], v[111:112], -v[113:114]
	v_add_f64 v[41:42], v[107:108], -v[72:73]
	v_fma_f64 v[71:72], v[99:100], 2.0, -v[27:28]
	v_fma_f64 v[69:70], v[101:102], 2.0, -v[25:26]
	;; [unrolled: 1-line block ×4, first 2 shown]
	global_store_dwordx4 v[146:147], v[53:56], off
	global_store_dwordx4 v[190:191], v[49:52], off
	;; [unrolled: 1-line block ×12, first 2 shown]
	v_mad_u64_u32 v[5:6], null, s2, v248, 0
	v_mad_u64_u32 v[7:8], null, s2, v247, 0
	v_fma_f64 v[95:96], v[109:110], 2.0, -v[47:48]
	v_fma_f64 v[93:94], v[111:112], 2.0, -v[45:46]
	;; [unrolled: 1-line block ×4, first 2 shown]
	v_mov_b32_e32 v0, v6
	v_add_nc_u32_e32 v17, 0x152, v247
	v_mov_b32_e32 v6, v8
	v_mov_b32_e32 v220, v230
	v_add_co_u32 v9, vcc_lo, v144, v217
	v_mad_u64_u32 v[13:14], null, s3, v248, v[0:1]
	v_mad_u64_u32 v[14:15], null, s3, v247, v[6:7]
	;; [unrolled: 1-line block ×3, first 2 shown]
	v_lshlrev_b64 v[11:12], 4, v[219:220]
	v_add_co_ci_u32_e32 v10, vcc_lo, v145, v218, vcc_lo
	global_store_dwordx4 v[201:202], v[93:96], off
	global_store_dwordx4 v[9:10], v[81:84], off
	v_mov_b32_e32 v0, v16
	v_add_co_u32 v11, vcc_lo, v144, v11
	v_add_co_ci_u32_e32 v12, vcc_lo, v145, v12, vcc_lo
	v_mad_u64_u32 v[9:10], null, s3, v17, v[0:1]
	v_mov_b32_e32 v6, v13
	global_store_dwordx4 v[11:12], v[45:48], off
	v_mov_b32_e32 v8, v14
	v_add_nc_u32_e32 v12, 0x2a4, v247
	v_add_nc_u32_e32 v14, 0x104, v198
	v_lshlrev_b64 v[5:6], 4, v[5:6]
	v_mov_b32_e32 v16, v9
	v_lshlrev_b64 v[7:8], 4, v[7:8]
	v_mad_u64_u32 v[10:11], null, s2, v12, 0
	v_mul_hi_u32 v9, 0x60f25deb, v14
	v_add_co_u32 v5, vcc_lo, v144, v5
	v_add_co_ci_u32_e32 v6, vcc_lo, v145, v6, vcc_lo
	v_fma_f64 v[87:88], v[91:92], 2.0, -v[39:40]
	v_fma_f64 v[91:92], v[105:106], 2.0, -v[43:44]
	;; [unrolled: 1-line block ×3, first 2 shown]
	v_mov_b32_e32 v0, v11
	v_lshrrev_b32_e32 v9, 7, v9
	v_fma_f64 v[75:76], v[74:75], 2.0, -v[3:4]
	v_fma_f64 v[73:74], v[77:78], 2.0, -v[1:2]
	v_fma_f64 v[79:80], v[79:80], 2.0, -v[31:32]
	v_fma_f64 v[77:78], v[85:86], 2.0, -v[29:30]
	global_store_dwordx4 v[5:6], v[33:36], off
	v_add_co_u32 v5, vcc_lo, v144, v7
	v_add_co_ci_u32_e32 v6, vcc_lo, v145, v8, vcc_lo
	v_lshlrev_b64 v[7:8], 4, v[15:16]
	v_add_nc_u32_e32 v15, 0x3f6, v247
	v_mad_u64_u32 v[11:12], null, s3, v12, v[0:1]
	v_mul_u32_u24_e32 v0, 0x152, v9
	v_fma_f64 v[85:86], v[103:104], 2.0, -v[37:38]
	v_mad_u64_u32 v[12:13], null, s2, v15, 0
	v_add_co_u32 v7, vcc_lo, v144, v7
	v_sub_nc_u32_e32 v14, v14, v0
	v_add_co_ci_u32_e32 v8, vcc_lo, v145, v8, vcc_lo
	global_store_dwordx4 v[5:6], v[89:92], off
	v_mov_b32_e32 v0, v13
	v_mad_u32_u24 v16, 0x548, v9, v14
	v_lshlrev_b64 v[5:6], 4, v[10:11]
	global_store_dwordx4 v[7:8], v[77:80], off
	v_mad_u64_u32 v[7:8], null, s3, v15, v[0:1]
	v_add_nc_u32_e32 v17, 0x152, v16
	v_mad_u64_u32 v[8:9], null, s2, v16, 0
	v_add_co_u32 v5, vcc_lo, v144, v5
	v_mad_u64_u32 v[10:11], null, s2, v17, 0
	v_add_co_ci_u32_e32 v6, vcc_lo, v145, v6, vcc_lo
	v_add_nc_u32_e32 v18, 0x2a4, v16
	v_mov_b32_e32 v0, v9
	v_mov_b32_e32 v13, v7
	global_store_dwordx4 v[5:6], v[41:44], off
	v_mov_b32_e32 v7, v11
	v_mad_u64_u32 v[5:6], null, s2, v18, 0
	v_add_nc_u32_e32 v19, 0x3f6, v16
	v_mad_u64_u32 v[14:15], null, s3, v16, v[0:1]
	v_mad_u64_u32 v[15:16], null, s3, v17, v[7:8]
	v_lshlrev_b64 v[12:13], 4, v[12:13]
	v_mad_u64_u32 v[16:17], null, s2, v19, 0
	v_mov_b32_e32 v0, v6
	v_mov_b32_e32 v9, v14
	v_add_co_u32 v6, vcc_lo, v144, v12
	v_add_co_ci_u32_e32 v7, vcc_lo, v145, v13, vcc_lo
	v_mad_u64_u32 v[12:13], null, s3, v18, v[0:1]
	v_mov_b32_e32 v0, v17
	v_mov_b32_e32 v11, v15
	global_store_dwordx4 v[6:7], v[29:32], off
	v_lshlrev_b64 v[7:8], 4, v[8:9]
	v_mad_u64_u32 v[13:14], null, s3, v19, v[0:1]
	v_mov_b32_e32 v6, v12
	v_lshlrev_b64 v[9:10], 4, v[10:11]
	v_add_co_u32 v7, vcc_lo, v144, v7
	v_add_co_ci_u32_e32 v8, vcc_lo, v145, v8, vcc_lo
	v_mov_b32_e32 v17, v13
	v_lshlrev_b64 v[5:6], 4, v[5:6]
	v_add_co_u32 v9, vcc_lo, v144, v9
	v_add_co_ci_u32_e32 v10, vcc_lo, v145, v10, vcc_lo
	v_lshlrev_b64 v[11:12], 4, v[16:17]
	v_add_co_u32 v5, vcc_lo, v144, v5
	v_add_nc_u32_e32 v0, 0x138, v198
	v_add_co_ci_u32_e32 v6, vcc_lo, v145, v6, vcc_lo
	v_add_co_u32 v11, vcc_lo, v144, v11
	v_add_co_ci_u32_e32 v12, vcc_lo, v145, v12, vcc_lo
	v_cmp_gt_u32_e32 vcc_lo, 0x152, v0
	global_store_dwordx4 v[7:8], v[85:88], off
	global_store_dwordx4 v[9:10], v[73:76], off
	;; [unrolled: 1-line block ×4, first 2 shown]
	s_and_b32 exec_lo, exec_lo, vcc_lo
	s_cbranch_execz .LBB0_20
; %bb.19:
	v_mul_i32_i24_e32 v176, 3, v214
	v_add_nc_u32_e32 v28, 0x3dc, v198
	v_add_nc_u32_e32 v27, 0x28a, v198
	;; [unrolled: 1-line block ×3, first 2 shown]
	v_lshlrev_b64 v[1:2], 4, v[176:177]
	v_mad_u64_u32 v[23:24], null, s2, v28, 0
	v_mad_u64_u32 v[21:22], null, s2, v27, 0
	;; [unrolled: 1-line block ×3, first 2 shown]
	v_add_co_u32 v3, vcc_lo, s8, v1
	v_add_co_ci_u32_e32 v4, vcc_lo, s9, v2, vcc_lo
	v_add_co_u32 v1, vcc_lo, 0x1000, v3
	v_add_co_ci_u32_e32 v2, vcc_lo, 0, v4, vcc_lo
	;; [unrolled: 2-line block ×3, first 2 shown]
	s_clause 0x2
	global_load_dwordx4 v[1:4], v[1:2], off offset:1280
	global_load_dwordx4 v[5:8], v[9:10], off offset:16
	;; [unrolled: 1-line block ×3, first 2 shown]
	s_waitcnt vmcnt(2)
	v_mul_f64 v[13:14], v[170:171], v[3:4]
	v_mul_f64 v[3:4], v[150:151], v[3:4]
	s_waitcnt vmcnt(1)
	v_mul_f64 v[15:16], v[172:173], v[7:8]
	v_mul_f64 v[7:8], v[152:153], v[7:8]
	;; [unrolled: 3-line block ×3, first 2 shown]
	v_fma_f64 v[13:14], v[150:151], v[1:2], v[13:14]
	v_fma_f64 v[1:2], v[170:171], v[1:2], -v[3:4]
	v_fma_f64 v[3:4], v[152:153], v[5:6], v[15:16]
	v_fma_f64 v[5:6], v[172:173], v[5:6], -v[7:8]
	;; [unrolled: 2-line block ×3, first 2 shown]
	v_add_f64 v[11:12], v[148:149], -v[3:4]
	v_add_f64 v[17:18], v[168:169], -v[5:6]
	;; [unrolled: 1-line block ×4, first 2 shown]
	v_fma_f64 v[15:16], v[148:149], 2.0, -v[11:12]
	v_fma_f64 v[19:20], v[168:169], 2.0, -v[17:18]
	;; [unrolled: 1-line block ×4, first 2 shown]
	v_add_f64 v[1:2], v[11:12], v[5:6]
	v_mad_u64_u32 v[13:14], null, s2, v0, 0
	v_add_f64 v[3:4], v[17:18], -v[3:4]
	v_add_f64 v[5:6], v[15:16], -v[7:8]
	;; [unrolled: 1-line block ×3, first 2 shown]
	v_mad_u64_u32 v[9:10], null, s3, v0, v[14:15]
	v_mov_b32_e32 v0, v24
	v_mov_b32_e32 v10, v26
	v_mad_u64_u32 v[26:27], null, s3, v27, v[22:23]
	v_mad_u64_u32 v[27:28], null, s3, v28, v[0:1]
	v_mov_b32_e32 v14, v9
	v_mad_u64_u32 v[28:29], null, s3, v29, v[10:11]
	v_mov_b32_e32 v22, v26
	v_fma_f64 v[9:10], v[11:12], 2.0, -v[1:2]
	v_lshlrev_b64 v[29:30], 4, v[13:14]
	v_fma_f64 v[11:12], v[17:18], 2.0, -v[3:4]
	v_mov_b32_e32 v24, v27
	v_lshlrev_b64 v[17:18], 4, v[21:22]
	v_mov_b32_e32 v26, v28
	v_fma_f64 v[13:14], v[15:16], 2.0, -v[5:6]
	v_fma_f64 v[15:16], v[19:20], 2.0, -v[7:8]
	v_lshlrev_b64 v[19:20], 4, v[23:24]
	v_add_co_u32 v23, vcc_lo, v144, v29
	v_add_co_ci_u32_e32 v24, vcc_lo, v145, v30, vcc_lo
	v_lshlrev_b64 v[21:22], 4, v[25:26]
	v_add_co_u32 v17, vcc_lo, v144, v17
	v_add_co_ci_u32_e32 v18, vcc_lo, v145, v18, vcc_lo
	v_add_co_u32 v19, vcc_lo, v144, v19
	v_add_co_ci_u32_e32 v20, vcc_lo, v145, v20, vcc_lo
	;; [unrolled: 2-line block ×3, first 2 shown]
	global_store_dwordx4 v[23:24], v[13:16], off
	global_store_dwordx4 v[17:18], v[9:12], off
	;; [unrolled: 1-line block ×4, first 2 shown]
.LBB0_20:
	s_endpgm
	.section	.rodata,"a",@progbits
	.p2align	6, 0x0
	.amdhsa_kernel fft_rtc_back_len1352_factors_2_13_13_4_wgs_52_tpt_52_halfLds_dp_op_CI_CI_sbrr_dirReg
		.amdhsa_group_segment_fixed_size 0
		.amdhsa_private_segment_fixed_size 0
		.amdhsa_kernarg_size 104
		.amdhsa_user_sgpr_count 6
		.amdhsa_user_sgpr_private_segment_buffer 1
		.amdhsa_user_sgpr_dispatch_ptr 0
		.amdhsa_user_sgpr_queue_ptr 0
		.amdhsa_user_sgpr_kernarg_segment_ptr 1
		.amdhsa_user_sgpr_dispatch_id 0
		.amdhsa_user_sgpr_flat_scratch_init 0
		.amdhsa_user_sgpr_private_segment_size 0
		.amdhsa_wavefront_size32 1
		.amdhsa_uses_dynamic_stack 0
		.amdhsa_system_sgpr_private_segment_wavefront_offset 0
		.amdhsa_system_sgpr_workgroup_id_x 1
		.amdhsa_system_sgpr_workgroup_id_y 0
		.amdhsa_system_sgpr_workgroup_id_z 0
		.amdhsa_system_sgpr_workgroup_info 0
		.amdhsa_system_vgpr_workitem_id 0
		.amdhsa_next_free_vgpr 255
		.amdhsa_next_free_sgpr 48
		.amdhsa_reserve_vcc 1
		.amdhsa_reserve_flat_scratch 0
		.amdhsa_float_round_mode_32 0
		.amdhsa_float_round_mode_16_64 0
		.amdhsa_float_denorm_mode_32 3
		.amdhsa_float_denorm_mode_16_64 3
		.amdhsa_dx10_clamp 1
		.amdhsa_ieee_mode 1
		.amdhsa_fp16_overflow 0
		.amdhsa_workgroup_processor_mode 1
		.amdhsa_memory_ordered 1
		.amdhsa_forward_progress 0
		.amdhsa_shared_vgpr_count 0
		.amdhsa_exception_fp_ieee_invalid_op 0
		.amdhsa_exception_fp_denorm_src 0
		.amdhsa_exception_fp_ieee_div_zero 0
		.amdhsa_exception_fp_ieee_overflow 0
		.amdhsa_exception_fp_ieee_underflow 0
		.amdhsa_exception_fp_ieee_inexact 0
		.amdhsa_exception_int_div_zero 0
	.end_amdhsa_kernel
	.text
.Lfunc_end0:
	.size	fft_rtc_back_len1352_factors_2_13_13_4_wgs_52_tpt_52_halfLds_dp_op_CI_CI_sbrr_dirReg, .Lfunc_end0-fft_rtc_back_len1352_factors_2_13_13_4_wgs_52_tpt_52_halfLds_dp_op_CI_CI_sbrr_dirReg
                                        ; -- End function
	.section	.AMDGPU.csdata,"",@progbits
; Kernel info:
; codeLenInByte = 25232
; NumSgprs: 50
; NumVgprs: 255
; ScratchSize: 0
; MemoryBound: 1
; FloatMode: 240
; IeeeMode: 1
; LDSByteSize: 0 bytes/workgroup (compile time only)
; SGPRBlocks: 6
; VGPRBlocks: 31
; NumSGPRsForWavesPerEU: 50
; NumVGPRsForWavesPerEU: 255
; Occupancy: 4
; WaveLimiterHint : 1
; COMPUTE_PGM_RSRC2:SCRATCH_EN: 0
; COMPUTE_PGM_RSRC2:USER_SGPR: 6
; COMPUTE_PGM_RSRC2:TRAP_HANDLER: 0
; COMPUTE_PGM_RSRC2:TGID_X_EN: 1
; COMPUTE_PGM_RSRC2:TGID_Y_EN: 0
; COMPUTE_PGM_RSRC2:TGID_Z_EN: 0
; COMPUTE_PGM_RSRC2:TIDIG_COMP_CNT: 0
	.text
	.p2alignl 6, 3214868480
	.fill 48, 4, 3214868480
	.type	__hip_cuid_e96d294a4ddff924,@object ; @__hip_cuid_e96d294a4ddff924
	.section	.bss,"aw",@nobits
	.globl	__hip_cuid_e96d294a4ddff924
__hip_cuid_e96d294a4ddff924:
	.byte	0                               ; 0x0
	.size	__hip_cuid_e96d294a4ddff924, 1

	.ident	"AMD clang version 19.0.0git (https://github.com/RadeonOpenCompute/llvm-project roc-6.4.0 25133 c7fe45cf4b819c5991fe208aaa96edf142730f1d)"
	.section	".note.GNU-stack","",@progbits
	.addrsig
	.addrsig_sym __hip_cuid_e96d294a4ddff924
	.amdgpu_metadata
---
amdhsa.kernels:
  - .args:
      - .actual_access:  read_only
        .address_space:  global
        .offset:         0
        .size:           8
        .value_kind:     global_buffer
      - .offset:         8
        .size:           8
        .value_kind:     by_value
      - .actual_access:  read_only
        .address_space:  global
        .offset:         16
        .size:           8
        .value_kind:     global_buffer
      - .actual_access:  read_only
        .address_space:  global
        .offset:         24
        .size:           8
        .value_kind:     global_buffer
      - .actual_access:  read_only
        .address_space:  global
        .offset:         32
        .size:           8
        .value_kind:     global_buffer
      - .offset:         40
        .size:           8
        .value_kind:     by_value
      - .actual_access:  read_only
        .address_space:  global
        .offset:         48
        .size:           8
        .value_kind:     global_buffer
      - .actual_access:  read_only
        .address_space:  global
        .offset:         56
        .size:           8
        .value_kind:     global_buffer
      - .offset:         64
        .size:           4
        .value_kind:     by_value
      - .actual_access:  read_only
        .address_space:  global
        .offset:         72
        .size:           8
        .value_kind:     global_buffer
      - .actual_access:  read_only
        .address_space:  global
        .offset:         80
        .size:           8
        .value_kind:     global_buffer
      - .actual_access:  read_only
        .address_space:  global
        .offset:         88
        .size:           8
        .value_kind:     global_buffer
      - .actual_access:  write_only
        .address_space:  global
        .offset:         96
        .size:           8
        .value_kind:     global_buffer
    .group_segment_fixed_size: 0
    .kernarg_segment_align: 8
    .kernarg_segment_size: 104
    .language:       OpenCL C
    .language_version:
      - 2
      - 0
    .max_flat_workgroup_size: 52
    .name:           fft_rtc_back_len1352_factors_2_13_13_4_wgs_52_tpt_52_halfLds_dp_op_CI_CI_sbrr_dirReg
    .private_segment_fixed_size: 0
    .sgpr_count:     50
    .sgpr_spill_count: 0
    .symbol:         fft_rtc_back_len1352_factors_2_13_13_4_wgs_52_tpt_52_halfLds_dp_op_CI_CI_sbrr_dirReg.kd
    .uniform_work_group_size: 1
    .uses_dynamic_stack: false
    .vgpr_count:     255
    .vgpr_spill_count: 0
    .wavefront_size: 32
    .workgroup_processor_mode: 1
amdhsa.target:   amdgcn-amd-amdhsa--gfx1030
amdhsa.version:
  - 1
  - 2
...

	.end_amdgpu_metadata
